;; amdgpu-corpus repo=ROCm/rocFFT kind=compiled arch=gfx1201 opt=O3
	.text
	.amdgcn_target "amdgcn-amd-amdhsa--gfx1201"
	.amdhsa_code_object_version 6
	.protected	fft_rtc_back_len2430_factors_10_3_3_3_3_3_wgs_81_tpt_81_halfLds_dp_op_CI_CI_unitstride_sbrr_R2C_dirReg ; -- Begin function fft_rtc_back_len2430_factors_10_3_3_3_3_3_wgs_81_tpt_81_halfLds_dp_op_CI_CI_unitstride_sbrr_R2C_dirReg
	.globl	fft_rtc_back_len2430_factors_10_3_3_3_3_3_wgs_81_tpt_81_halfLds_dp_op_CI_CI_unitstride_sbrr_R2C_dirReg
	.p2align	8
	.type	fft_rtc_back_len2430_factors_10_3_3_3_3_3_wgs_81_tpt_81_halfLds_dp_op_CI_CI_unitstride_sbrr_R2C_dirReg,@function
fft_rtc_back_len2430_factors_10_3_3_3_3_3_wgs_81_tpt_81_halfLds_dp_op_CI_CI_unitstride_sbrr_R2C_dirReg: ; @fft_rtc_back_len2430_factors_10_3_3_3_3_3_wgs_81_tpt_81_halfLds_dp_op_CI_CI_unitstride_sbrr_R2C_dirReg
; %bb.0:
	s_clause 0x2
	s_load_b128 s[8:11], s[0:1], 0x0
	s_load_b128 s[4:7], s[0:1], 0x58
	;; [unrolled: 1-line block ×3, first 2 shown]
	v_mul_u32_u24_e32 v1, 0x32a, v0
	v_mov_b32_e32 v3, 0
	s_delay_alu instid0(VALU_DEP_2) | instskip(NEXT) | instid1(VALU_DEP_1)
	v_lshrrev_b32_e32 v1, 16, v1
	v_add_nc_u32_e32 v5, ttmp9, v1
	v_mov_b32_e32 v1, 0
	v_mov_b32_e32 v2, 0
	;; [unrolled: 1-line block ×3, first 2 shown]
	s_wait_kmcnt 0x0
	v_cmp_lt_u64_e64 s2, s[10:11], 2
	s_delay_alu instid0(VALU_DEP_1)
	s_and_b32 vcc_lo, exec_lo, s2
	s_cbranch_vccnz .LBB0_8
; %bb.1:
	s_load_b64 s[2:3], s[0:1], 0x10
	v_mov_b32_e32 v1, 0
	v_mov_b32_e32 v2, 0
	s_add_nc_u64 s[16:17], s[14:15], 8
	s_add_nc_u64 s[18:19], s[12:13], 8
	s_mov_b64 s[20:21], 1
	s_delay_alu instid0(VALU_DEP_1)
	v_dual_mov_b32 v117, v2 :: v_dual_mov_b32 v116, v1
	s_wait_kmcnt 0x0
	s_add_nc_u64 s[22:23], s[2:3], 8
	s_mov_b32 s3, 0
.LBB0_2:                                ; =>This Inner Loop Header: Depth=1
	s_load_b64 s[24:25], s[22:23], 0x0
                                        ; implicit-def: $vgpr118_vgpr119
	s_mov_b32 s2, exec_lo
	s_wait_kmcnt 0x0
	v_or_b32_e32 v4, s25, v6
	s_delay_alu instid0(VALU_DEP_1)
	v_cmpx_ne_u64_e32 0, v[3:4]
	s_wait_alu 0xfffe
	s_xor_b32 s26, exec_lo, s2
	s_cbranch_execz .LBB0_4
; %bb.3:                                ;   in Loop: Header=BB0_2 Depth=1
	s_cvt_f32_u32 s2, s24
	s_cvt_f32_u32 s27, s25
	s_sub_nc_u64 s[30:31], 0, s[24:25]
	s_wait_alu 0xfffe
	s_delay_alu instid0(SALU_CYCLE_1) | instskip(SKIP_1) | instid1(SALU_CYCLE_2)
	s_fmamk_f32 s2, s27, 0x4f800000, s2
	s_wait_alu 0xfffe
	v_s_rcp_f32 s2, s2
	s_delay_alu instid0(TRANS32_DEP_1) | instskip(SKIP_1) | instid1(SALU_CYCLE_2)
	s_mul_f32 s2, s2, 0x5f7ffffc
	s_wait_alu 0xfffe
	s_mul_f32 s27, s2, 0x2f800000
	s_wait_alu 0xfffe
	s_delay_alu instid0(SALU_CYCLE_2) | instskip(SKIP_1) | instid1(SALU_CYCLE_2)
	s_trunc_f32 s27, s27
	s_wait_alu 0xfffe
	s_fmamk_f32 s2, s27, 0xcf800000, s2
	s_cvt_u32_f32 s29, s27
	s_wait_alu 0xfffe
	s_delay_alu instid0(SALU_CYCLE_1) | instskip(SKIP_1) | instid1(SALU_CYCLE_2)
	s_cvt_u32_f32 s28, s2
	s_wait_alu 0xfffe
	s_mul_u64 s[34:35], s[30:31], s[28:29]
	s_wait_alu 0xfffe
	s_mul_hi_u32 s37, s28, s35
	s_mul_i32 s36, s28, s35
	s_mul_hi_u32 s2, s28, s34
	s_mul_i32 s33, s29, s34
	s_wait_alu 0xfffe
	s_add_nc_u64 s[36:37], s[2:3], s[36:37]
	s_mul_hi_u32 s27, s29, s34
	s_mul_hi_u32 s38, s29, s35
	s_add_co_u32 s2, s36, s33
	s_wait_alu 0xfffe
	s_add_co_ci_u32 s2, s37, s27
	s_mul_i32 s34, s29, s35
	s_add_co_ci_u32 s35, s38, 0
	s_wait_alu 0xfffe
	s_add_nc_u64 s[34:35], s[2:3], s[34:35]
	s_wait_alu 0xfffe
	v_add_co_u32 v4, s2, s28, s34
	s_delay_alu instid0(VALU_DEP_1) | instskip(SKIP_1) | instid1(VALU_DEP_1)
	s_cmp_lg_u32 s2, 0
	s_add_co_ci_u32 s29, s29, s35
	v_readfirstlane_b32 s28, v4
	s_wait_alu 0xfffe
	s_delay_alu instid0(VALU_DEP_1)
	s_mul_u64 s[30:31], s[30:31], s[28:29]
	s_wait_alu 0xfffe
	s_mul_hi_u32 s35, s28, s31
	s_mul_i32 s34, s28, s31
	s_mul_hi_u32 s2, s28, s30
	s_mul_i32 s33, s29, s30
	s_wait_alu 0xfffe
	s_add_nc_u64 s[34:35], s[2:3], s[34:35]
	s_mul_hi_u32 s27, s29, s30
	s_mul_hi_u32 s28, s29, s31
	s_wait_alu 0xfffe
	s_add_co_u32 s2, s34, s33
	s_add_co_ci_u32 s2, s35, s27
	s_mul_i32 s30, s29, s31
	s_add_co_ci_u32 s31, s28, 0
	s_wait_alu 0xfffe
	s_add_nc_u64 s[30:31], s[2:3], s[30:31]
	s_wait_alu 0xfffe
	v_add_co_u32 v4, s2, v4, s30
	s_delay_alu instid0(VALU_DEP_1) | instskip(SKIP_1) | instid1(VALU_DEP_1)
	s_cmp_lg_u32 s2, 0
	s_add_co_ci_u32 s2, s29, s31
	v_mul_hi_u32 v13, v5, v4
	s_wait_alu 0xfffe
	v_mad_co_u64_u32 v[7:8], null, v5, s2, 0
	v_mad_co_u64_u32 v[9:10], null, v6, v4, 0
	;; [unrolled: 1-line block ×3, first 2 shown]
	s_delay_alu instid0(VALU_DEP_3) | instskip(SKIP_1) | instid1(VALU_DEP_4)
	v_add_co_u32 v4, vcc_lo, v13, v7
	s_wait_alu 0xfffd
	v_add_co_ci_u32_e32 v7, vcc_lo, 0, v8, vcc_lo
	s_delay_alu instid0(VALU_DEP_2) | instskip(SKIP_1) | instid1(VALU_DEP_2)
	v_add_co_u32 v4, vcc_lo, v4, v9
	s_wait_alu 0xfffd
	v_add_co_ci_u32_e32 v4, vcc_lo, v7, v10, vcc_lo
	s_wait_alu 0xfffd
	v_add_co_ci_u32_e32 v7, vcc_lo, 0, v12, vcc_lo
	s_delay_alu instid0(VALU_DEP_2) | instskip(SKIP_1) | instid1(VALU_DEP_2)
	v_add_co_u32 v4, vcc_lo, v4, v11
	s_wait_alu 0xfffd
	v_add_co_ci_u32_e32 v9, vcc_lo, 0, v7, vcc_lo
	s_delay_alu instid0(VALU_DEP_2) | instskip(SKIP_1) | instid1(VALU_DEP_3)
	v_mul_lo_u32 v10, s25, v4
	v_mad_co_u64_u32 v[7:8], null, s24, v4, 0
	v_mul_lo_u32 v11, s24, v9
	s_delay_alu instid0(VALU_DEP_2) | instskip(NEXT) | instid1(VALU_DEP_2)
	v_sub_co_u32 v7, vcc_lo, v5, v7
	v_add3_u32 v8, v8, v11, v10
	s_delay_alu instid0(VALU_DEP_1) | instskip(SKIP_1) | instid1(VALU_DEP_1)
	v_sub_nc_u32_e32 v10, v6, v8
	s_wait_alu 0xfffd
	v_subrev_co_ci_u32_e64 v10, s2, s25, v10, vcc_lo
	v_add_co_u32 v11, s2, v4, 2
	s_wait_alu 0xf1ff
	v_add_co_ci_u32_e64 v12, s2, 0, v9, s2
	v_sub_co_u32 v13, s2, v7, s24
	v_sub_co_ci_u32_e32 v8, vcc_lo, v6, v8, vcc_lo
	s_wait_alu 0xf1ff
	v_subrev_co_ci_u32_e64 v10, s2, 0, v10, s2
	s_delay_alu instid0(VALU_DEP_3) | instskip(NEXT) | instid1(VALU_DEP_3)
	v_cmp_le_u32_e32 vcc_lo, s24, v13
	v_cmp_eq_u32_e64 s2, s25, v8
	s_wait_alu 0xfffd
	v_cndmask_b32_e64 v13, 0, -1, vcc_lo
	v_cmp_le_u32_e32 vcc_lo, s25, v10
	s_wait_alu 0xfffd
	v_cndmask_b32_e64 v14, 0, -1, vcc_lo
	v_cmp_le_u32_e32 vcc_lo, s24, v7
	;; [unrolled: 3-line block ×3, first 2 shown]
	s_wait_alu 0xfffd
	v_cndmask_b32_e64 v15, 0, -1, vcc_lo
	v_cmp_eq_u32_e32 vcc_lo, s25, v10
	s_wait_alu 0xf1ff
	s_delay_alu instid0(VALU_DEP_2)
	v_cndmask_b32_e64 v7, v15, v7, s2
	s_wait_alu 0xfffd
	v_cndmask_b32_e32 v10, v14, v13, vcc_lo
	v_add_co_u32 v13, vcc_lo, v4, 1
	s_wait_alu 0xfffd
	v_add_co_ci_u32_e32 v14, vcc_lo, 0, v9, vcc_lo
	s_delay_alu instid0(VALU_DEP_3) | instskip(SKIP_1) | instid1(VALU_DEP_2)
	v_cmp_ne_u32_e32 vcc_lo, 0, v10
	s_wait_alu 0xfffd
	v_cndmask_b32_e32 v8, v14, v12, vcc_lo
	v_cndmask_b32_e32 v10, v13, v11, vcc_lo
	v_cmp_ne_u32_e32 vcc_lo, 0, v7
	s_wait_alu 0xfffd
	s_delay_alu instid0(VALU_DEP_2)
	v_dual_cndmask_b32 v119, v9, v8 :: v_dual_cndmask_b32 v118, v4, v10
.LBB0_4:                                ;   in Loop: Header=BB0_2 Depth=1
	s_wait_alu 0xfffe
	s_and_not1_saveexec_b32 s2, s26
	s_cbranch_execz .LBB0_6
; %bb.5:                                ;   in Loop: Header=BB0_2 Depth=1
	v_cvt_f32_u32_e32 v4, s24
	s_sub_co_i32 s26, 0, s24
	v_mov_b32_e32 v119, v3
	s_delay_alu instid0(VALU_DEP_2) | instskip(NEXT) | instid1(TRANS32_DEP_1)
	v_rcp_iflag_f32_e32 v4, v4
	v_mul_f32_e32 v4, 0x4f7ffffe, v4
	s_delay_alu instid0(VALU_DEP_1) | instskip(SKIP_1) | instid1(VALU_DEP_1)
	v_cvt_u32_f32_e32 v4, v4
	s_wait_alu 0xfffe
	v_mul_lo_u32 v7, s26, v4
	s_delay_alu instid0(VALU_DEP_1) | instskip(NEXT) | instid1(VALU_DEP_1)
	v_mul_hi_u32 v7, v4, v7
	v_add_nc_u32_e32 v4, v4, v7
	s_delay_alu instid0(VALU_DEP_1) | instskip(NEXT) | instid1(VALU_DEP_1)
	v_mul_hi_u32 v4, v5, v4
	v_mul_lo_u32 v7, v4, s24
	v_add_nc_u32_e32 v8, 1, v4
	s_delay_alu instid0(VALU_DEP_2) | instskip(NEXT) | instid1(VALU_DEP_1)
	v_sub_nc_u32_e32 v7, v5, v7
	v_subrev_nc_u32_e32 v9, s24, v7
	v_cmp_le_u32_e32 vcc_lo, s24, v7
	s_wait_alu 0xfffd
	s_delay_alu instid0(VALU_DEP_2) | instskip(NEXT) | instid1(VALU_DEP_1)
	v_dual_cndmask_b32 v7, v7, v9 :: v_dual_cndmask_b32 v4, v4, v8
	v_cmp_le_u32_e32 vcc_lo, s24, v7
	s_delay_alu instid0(VALU_DEP_2) | instskip(SKIP_1) | instid1(VALU_DEP_1)
	v_add_nc_u32_e32 v8, 1, v4
	s_wait_alu 0xfffd
	v_cndmask_b32_e32 v118, v4, v8, vcc_lo
.LBB0_6:                                ;   in Loop: Header=BB0_2 Depth=1
	s_wait_alu 0xfffe
	s_or_b32 exec_lo, exec_lo, s2
	v_mul_lo_u32 v4, v119, s24
	s_delay_alu instid0(VALU_DEP_2)
	v_mul_lo_u32 v9, v118, s25
	s_load_b64 s[26:27], s[18:19], 0x0
	v_mad_co_u64_u32 v[7:8], null, v118, s24, 0
	s_load_b64 s[24:25], s[16:17], 0x0
	s_add_nc_u64 s[20:21], s[20:21], 1
	s_add_nc_u64 s[16:17], s[16:17], 8
	s_wait_alu 0xfffe
	v_cmp_ge_u64_e64 s2, s[20:21], s[10:11]
	s_add_nc_u64 s[18:19], s[18:19], 8
	s_add_nc_u64 s[22:23], s[22:23], 8
	v_add3_u32 v4, v8, v9, v4
	v_sub_co_u32 v5, vcc_lo, v5, v7
	s_wait_alu 0xfffd
	s_delay_alu instid0(VALU_DEP_2) | instskip(SKIP_2) | instid1(VALU_DEP_1)
	v_sub_co_ci_u32_e32 v4, vcc_lo, v6, v4, vcc_lo
	s_and_b32 vcc_lo, exec_lo, s2
	s_wait_kmcnt 0x0
	v_mul_lo_u32 v6, s26, v4
	v_mul_lo_u32 v7, s27, v5
	v_mad_co_u64_u32 v[1:2], null, s26, v5, v[1:2]
	v_mul_lo_u32 v4, s24, v4
	v_mul_lo_u32 v8, s25, v5
	v_mad_co_u64_u32 v[116:117], null, s24, v5, v[116:117]
	s_delay_alu instid0(VALU_DEP_4) | instskip(NEXT) | instid1(VALU_DEP_2)
	v_add3_u32 v2, v7, v2, v6
	v_add3_u32 v117, v8, v117, v4
	s_wait_alu 0xfffe
	s_cbranch_vccnz .LBB0_9
; %bb.7:                                ;   in Loop: Header=BB0_2 Depth=1
	v_dual_mov_b32 v5, v118 :: v_dual_mov_b32 v6, v119
	s_branch .LBB0_2
.LBB0_8:
	v_dual_mov_b32 v117, v2 :: v_dual_mov_b32 v116, v1
	v_dual_mov_b32 v119, v6 :: v_dual_mov_b32 v118, v5
.LBB0_9:
	s_load_b64 s[0:1], s[0:1], 0x28
	v_mul_hi_u32 v3, 0x3291620, v0
	s_lshl_b64 s[10:11], s[10:11], 3
                                        ; implicit-def: $vgpr112
                                        ; implicit-def: $vgpr114
                                        ; implicit-def: $vgpr127
                                        ; implicit-def: $vgpr126
                                        ; implicit-def: $vgpr125
                                        ; implicit-def: $vgpr124
                                        ; implicit-def: $vgpr123
                                        ; implicit-def: $vgpr122
                                        ; implicit-def: $vgpr121
                                        ; implicit-def: $vgpr120
	s_wait_kmcnt 0x0
	v_cmp_gt_u64_e32 vcc_lo, s[0:1], v[118:119]
	v_cmp_le_u64_e64 s0, s[0:1], v[118:119]
	s_delay_alu instid0(VALU_DEP_1)
	s_and_saveexec_b32 s1, s0
	s_wait_alu 0xfffe
	s_xor_b32 s0, exec_lo, s1
; %bb.10:
	v_mul_u32_u24_e32 v1, 0x51, v3
                                        ; implicit-def: $vgpr3
	s_delay_alu instid0(VALU_DEP_1) | instskip(NEXT) | instid1(VALU_DEP_1)
	v_sub_nc_u32_e32 v112, v0, v1
                                        ; implicit-def: $vgpr0
                                        ; implicit-def: $vgpr1_vgpr2
	v_add_nc_u32_e32 v114, 0x51, v112
	v_add_nc_u32_e32 v127, 0xa2, v112
	;; [unrolled: 1-line block ×9, first 2 shown]
; %bb.11:
	s_wait_alu 0xfffe
	s_or_saveexec_b32 s1, s0
	s_add_nc_u64 s[2:3], s[14:15], s[10:11]
	s_wait_alu 0xfffe
	s_xor_b32 exec_lo, exec_lo, s1
	s_cbranch_execz .LBB0_13
; %bb.12:
	s_add_nc_u64 s[10:11], s[12:13], s[10:11]
	v_lshlrev_b64_e32 v[1:2], 4, v[1:2]
	s_load_b64 s[10:11], s[10:11], 0x0
	s_wait_kmcnt 0x0
	v_mul_lo_u32 v6, s11, v118
	v_mul_lo_u32 v7, s10, v119
	v_mad_co_u64_u32 v[4:5], null, s10, v118, 0
	s_delay_alu instid0(VALU_DEP_1) | instskip(SKIP_1) | instid1(VALU_DEP_2)
	v_add3_u32 v5, v5, v7, v6
	v_mul_u32_u24_e32 v6, 0x51, v3
	v_lshlrev_b64_e32 v[3:4], 4, v[4:5]
	s_delay_alu instid0(VALU_DEP_2) | instskip(NEXT) | instid1(VALU_DEP_1)
	v_sub_nc_u32_e32 v112, v0, v6
	v_lshlrev_b32_e32 v115, 4, v112
	s_delay_alu instid0(VALU_DEP_3) | instskip(SKIP_1) | instid1(VALU_DEP_4)
	v_add_co_u32 v0, s0, s4, v3
	s_wait_alu 0xf1ff
	v_add_co_ci_u32_e64 v3, s0, s5, v4, s0
	v_add_nc_u32_e32 v127, 0xa2, v112
	s_delay_alu instid0(VALU_DEP_3) | instskip(SKIP_1) | instid1(VALU_DEP_3)
	v_add_co_u32 v0, s0, v0, v1
	s_wait_alu 0xf1ff
	v_add_co_ci_u32_e64 v1, s0, v3, v2, s0
	v_add_nc_u32_e32 v126, 0xf3, v112
	s_delay_alu instid0(VALU_DEP_3) | instskip(SKIP_1) | instid1(VALU_DEP_3)
	v_add_co_u32 v113, s0, v0, v115
	s_wait_alu 0xf1ff
	v_add_co_ci_u32_e64 v114, s0, 0, v1, s0
	s_clause 0x1d
	global_load_b128 v[0:3], v[113:114], off
	global_load_b128 v[4:7], v[113:114], off offset:1296
	global_load_b128 v[8:11], v[113:114], off offset:2592
	;; [unrolled: 1-line block ×29, first 2 shown]
	v_add_nc_u32_e32 v114, 0x51, v112
	v_add_nc_u32_e32 v125, 0x144, v112
	;; [unrolled: 1-line block ×8, first 2 shown]
	s_wait_loadcnt 0x1d
	ds_store_b128 v113, v[0:3]
	s_wait_loadcnt 0x1c
	ds_store_b128 v113, v[4:7] offset:1296
	s_wait_loadcnt 0x1b
	ds_store_b128 v113, v[8:11] offset:2592
	;; [unrolled: 2-line block ×29, first 2 shown]
.LBB0_13:
	s_or_b32 exec_lo, exec_lo, s1
	v_lshlrev_b32_e32 v113, 4, v112
	s_load_b64 s[2:3], s[2:3], 0x0
	global_wb scope:SCOPE_SE
	s_wait_dscnt 0x0
	s_wait_kmcnt 0x0
	s_barrier_signal -1
	s_barrier_wait -1
	v_add_nc_u32_e32 v158, 0, v113
	global_inv scope:SCOPE_SE
	s_mov_b32 s14, 0x134454ff
	s_mov_b32 s15, 0xbfee6f0e
	;; [unrolled: 1-line block ×3, first 2 shown]
	ds_load_b128 v[4:7], v158 offset:7776
	ds_load_b128 v[0:3], v158
	ds_load_b128 v[8:11], v158 offset:11664
	ds_load_b128 v[20:23], v158 offset:3888
	ds_load_b128 v[16:19], v158 offset:1296
	ds_load_b128 v[12:15], v158 offset:9072
	ds_load_b128 v[32:35], v158 offset:2592
	ds_load_b128 v[36:39], v158 offset:10368
	ds_load_b128 v[40:43], v158 offset:15552
	ds_load_b128 v[44:47], v158 offset:16848
	ds_load_b128 v[48:51], v158 offset:23328
	ds_load_b128 v[52:55], v158 offset:24624
	ds_load_b128 v[56:59], v158 offset:31104
	ds_load_b128 v[60:63], v158 offset:32400
	ds_load_b128 v[64:67], v158 offset:19440
	ds_load_b128 v[68:71], v158 offset:18144
	ds_load_b128 v[72:75], v158 offset:27216
	ds_load_b128 v[76:79], v158 offset:25920
	ds_load_b128 v[80:83], v158 offset:34992
	ds_load_b128 v[84:87], v158 offset:33696
	ds_load_b128 v[88:91], v158 offset:5184
	ds_load_b128 v[92:95], v158 offset:6480
	ds_load_b128 v[96:99], v158 offset:12960
	ds_load_b128 v[100:103], v158 offset:14256
	ds_load_b128 v[104:107], v158 offset:20736
	ds_load_b128 v[108:111], v158 offset:22032
	ds_load_b128 v[128:131], v158 offset:28512
	ds_load_b128 v[132:135], v158 offset:29808
	ds_load_b128 v[136:139], v158 offset:36288
	ds_load_b128 v[24:27], v158 offset:37584
	s_wait_dscnt 0x13
	v_add_f64_e32 v[148:149], v[40:41], v[48:49]
	v_add_f64_e32 v[154:155], v[42:43], v[50:51]
	v_add_f64_e64 v[159:160], v[42:43], -v[50:51]
	s_mov_b32 s0, s14
	s_wait_dscnt 0x11
	v_add_f64_e64 v[163:164], v[56:57], -v[48:49]
	v_add_f64_e64 v[175:176], v[48:49], -v[56:57]
	s_wait_dscnt 0xd
	v_add_f64_e32 v[167:168], v[66:67], v[74:75]
	v_add_f64_e32 v[169:170], v[64:65], v[72:73]
	v_add_f64_e64 v[193:194], v[66:67], -v[74:75]
	v_add_f64_e32 v[177:178], v[44:45], v[52:53]
	v_add_f64_e32 v[185:186], v[46:47], v[54:55]
	s_mov_b32 s12, 0x4755a5e
	v_add_f64_e32 v[152:153], v[4:5], v[56:57]
	v_add_f64_e32 v[28:29], v[0:1], v[4:5]
	s_wait_dscnt 0xb
	v_add_f64_e32 v[171:172], v[8:9], v[80:81]
	v_add_f64_e32 v[142:143], v[22:23], v[10:11]
	;; [unrolled: 1-line block ×4, first 2 shown]
	s_wait_dscnt 0x7
	v_add_f64_e32 v[181:182], v[88:89], v[96:97]
	v_add_f64_e32 v[183:184], v[90:91], v[98:99]
	v_add_f64_e64 v[199:200], v[10:11], -v[66:67]
	v_add_f64_e32 v[140:141], v[20:21], v[8:9]
	v_add_f64_e32 v[146:147], v[18:19], v[14:15]
	v_add_f64_e64 v[150:151], v[6:7], -v[58:59]
	v_add_f64_e32 v[156:157], v[6:7], v[58:59]
	v_add_f64_e64 v[161:162], v[4:5], -v[40:41]
	v_add_f64_e64 v[165:166], v[40:41], -v[4:5]
	v_add_f64_e32 v[179:180], v[12:13], v[60:61]
	v_add_f64_e32 v[187:188], v[14:15], v[62:63]
	v_add_f64_e64 v[215:216], v[12:13], -v[60:61]
	s_mov_b32 s13, 0xbfe2cf23
	s_mov_b32 s5, 0x3fe2cf23
	;; [unrolled: 1-line block ×3, first 2 shown]
	v_add_f64_e32 v[30:31], v[2:3], v[6:7]
	v_add_f64_e64 v[209:210], v[14:15], -v[46:47]
	v_add_f64_e64 v[211:212], v[46:47], -v[14:15]
	;; [unrolled: 1-line block ×3, first 2 shown]
	v_add_f64_e32 v[221:222], v[70:71], v[78:79]
	v_fma_f64 v[148:149], v[148:149], -0.5, v[0:1]
	v_add_f64_e64 v[223:224], v[38:39], -v[70:71]
	v_add_f64_e64 v[225:226], v[38:39], -v[86:87]
	v_add_f64_e32 v[227:228], v[36:37], v[84:85]
	v_add_f64_e64 v[229:230], v[36:37], -v[84:85]
	s_mov_b32 s10, 0x372fe950
	v_fma_f64 v[167:168], v[167:168], -0.5, v[22:23]
	v_fma_f64 v[169:170], v[169:170], -0.5, v[20:21]
	s_mov_b32 s11, 0x3fd3c6ef
	v_fma_f64 v[177:178], v[177:178], -0.5, v[16:17]
	v_fma_f64 v[185:186], v[185:186], -0.5, v[18:19]
	v_add_f64_e64 v[189:190], v[6:7], -v[42:43]
	v_fma_f64 v[0:1], v[152:153], -0.5, v[0:1]
	v_fma_f64 v[152:153], v[154:155], -0.5, v[2:3]
	v_add_f64_e64 v[154:155], v[82:83], -v[74:75]
	v_add_f64_e32 v[142:143], v[142:143], v[66:67]
	v_add_f64_e64 v[66:67], v[66:67], -v[10:11]
	v_add_f64_e32 v[144:145], v[144:145], v[44:45]
	s_wait_dscnt 0x5
	v_add_f64_e32 v[181:182], v[181:182], v[104:105]
	v_add_f64_e32 v[183:184], v[183:184], v[106:107]
	v_fma_f64 v[20:21], v[171:172], -0.5, v[20:21]
	v_fma_f64 v[22:23], v[173:174], -0.5, v[22:23]
	v_add_f64_e64 v[171:172], v[12:13], -v[44:45]
	v_add_f64_e64 v[173:174], v[44:45], -v[12:13]
	v_add_f64_e32 v[28:29], v[28:29], v[40:41]
	v_add_f64_e64 v[40:41], v[40:41], -v[48:49]
	v_add_f64_e32 v[146:147], v[146:147], v[46:47]
	v_fma_f64 v[2:3], v[156:157], -0.5, v[2:3]
	v_add_f64_e64 v[156:157], v[46:47], -v[54:55]
	v_fma_f64 v[179:180], v[179:180], -0.5, v[16:17]
	v_fma_f64 v[187:188], v[187:188], -0.5, v[18:19]
	v_add_f64_e64 v[6:7], v[42:43], -v[6:7]
	v_add_f64_e64 v[4:5], v[4:5], -v[56:57]
	;; [unrolled: 1-line block ×3, first 2 shown]
	v_add_f64_e32 v[140:141], v[140:141], v[64:65]
	v_add_f64_e64 v[195:196], v[8:9], -v[64:65]
	v_add_f64_e64 v[197:198], v[64:65], -v[8:9]
	;; [unrolled: 1-line block ×6, first 2 shown]
	v_add_f64_e32 v[30:31], v[30:31], v[42:43]
	v_add_f64_e64 v[42:43], v[58:59], -v[50:51]
	s_mov_b32 s20, 0x9b97f4a8
	s_mov_b32 s21, 0x3fe9e377
	s_wait_dscnt 0x3
	v_add_f64_e32 v[201:202], v[106:107], v[130:131]
	v_add_f64_e32 v[203:204], v[104:105], v[128:129]
	s_mov_b32 s17, 0xbfd3c6ef
	s_mov_b32 s19, 0xbfe9e377
	s_wait_alu 0xfffe
	s_mov_b32 s16, s10
	s_mov_b32 s18, s20
	v_add_f64_e64 v[207:208], v[44:45], -v[52:53]
	v_add_f64_e32 v[154:155], v[199:200], v[154:155]
	v_add_f64_e32 v[142:143], v[142:143], v[74:75]
	v_add_f64_e64 v[74:75], v[74:75], -v[82:83]
	v_add_f64_e32 v[12:13], v[144:145], v[52:53]
	v_add_f64_e32 v[144:145], v[34:35], v[38:39]
	;; [unrolled: 1-line block ×4, first 2 shown]
	v_add_f64_e64 v[181:182], v[70:71], -v[78:79]
	v_add_f64_e64 v[183:184], v[36:37], -v[68:69]
	;; [unrolled: 1-line block ×3, first 2 shown]
	v_add_f64_e32 v[28:29], v[28:29], v[48:49]
	s_wait_dscnt 0x1
	v_add_f64_e32 v[48:49], v[96:97], v[136:137]
	v_add_f64_e32 v[14:15], v[146:147], v[54:55]
	;; [unrolled: 1-line block ×3, first 2 shown]
	s_wait_dscnt 0x0
	v_add_f64_e32 v[231:232], v[102:103], v[26:27]
	v_add_f64_e64 v[217:218], v[60:61], -v[52:53]
	v_add_f64_e64 v[233:234], v[110:111], -v[134:135]
	;; [unrolled: 1-line block ×4, first 2 shown]
	v_add_f64_e32 v[6:7], v[6:7], v[191:192]
	v_add_f64_e32 v[140:141], v[140:141], v[72:73]
	v_add_f64_e64 v[72:73], v[72:73], -v[80:81]
	v_add_f64_e32 v[191:192], v[92:93], v[100:101]
	global_wb scope:SCOPE_SE
	s_barrier_signal -1
	s_barrier_wait -1
	global_inv scope:SCOPE_SE
	v_add_f64_e32 v[30:31], v[30:31], v[50:51]
	v_add_f64_e32 v[50:51], v[98:99], v[138:139]
	v_add_f64_e32 v[42:43], v[189:190], v[42:43]
	v_fma_f64 v[201:202], v[201:202], -0.5, v[90:91]
	v_fma_f64 v[203:204], v[203:204], -0.5, v[88:89]
	v_add_f64_e32 v[46:47], v[142:143], v[82:83]
	v_add_f64_e32 v[66:67], v[66:67], v[74:75]
	v_fma_f64 v[74:75], v[159:160], s[0:1], v[0:1]
	v_fma_f64 v[0:1], v[159:160], s[14:15], v[0:1]
	v_add_f64_e32 v[142:143], v[32:33], v[36:37]
	v_add_f64_e32 v[144:145], v[144:145], v[70:71]
	v_add_f64_e64 v[70:71], v[70:71], -v[38:39]
	v_add_f64_e32 v[36:37], v[38:39], v[86:87]
	v_add_f64_e32 v[38:39], v[161:162], v[163:164]
	;; [unrolled: 1-line block ×6, first 2 shown]
	v_add_f64_e64 v[56:57], v[96:97], -v[104:105]
	v_add_f64_e64 v[82:83], v[98:99], -v[106:107]
	v_fma_f64 v[48:49], v[48:49], -0.5, v[88:89]
	v_add_f64_e64 v[88:89], v[52:53], -v[60:61]
	v_add_f64_e64 v[52:53], v[54:55], -v[62:63]
	v_fma_f64 v[146:147], v[146:147], -0.5, v[32:33]
	v_add_f64_e32 v[44:45], v[140:141], v[80:81]
	v_add_f64_e32 v[72:73], v[197:198], v[72:73]
	v_add_f64_e64 v[80:81], v[104:105], -v[128:129]
	v_fma_f64 v[197:198], v[221:222], -0.5, v[34:35]
	v_add_f64_e32 v[221:222], v[110:111], v[134:135]
	v_add_f64_e64 v[140:141], v[138:139], -v[130:131]
	v_fma_f64 v[195:196], v[227:228], -0.5, v[32:33]
	v_add_f64_e32 v[30:31], v[30:31], v[58:59]
	v_fma_f64 v[50:51], v[50:51], -0.5, v[90:91]
	v_add_f64_e64 v[58:59], v[104:105], -v[96:97]
	v_add_f64_e64 v[96:97], v[96:97], -v[136:137]
	;; [unrolled: 1-line block ×9, first 2 shown]
	v_add_f64_e32 v[60:61], v[12:13], v[60:61]
	v_add_f64_e32 v[227:228], v[100:101], v[24:25]
	;; [unrolled: 1-line block ×3, first 2 shown]
	v_fma_f64 v[74:75], v[150:151], s[12:13], v[74:75]
	v_fma_f64 v[0:1], v[150:151], s[4:5], v[0:1]
	v_add_f64_e32 v[142:143], v[142:143], v[68:69]
	v_add_f64_e32 v[144:145], v[144:145], v[78:79]
	v_add_f64_e64 v[68:69], v[68:69], -v[76:77]
	v_fma_f64 v[199:200], v[36:37], -0.5, v[34:35]
	v_add_f64_e64 v[100:101], v[100:101], -v[24:25]
	v_add_f64_e32 v[138:139], v[18:19], v[138:139]
	v_add_f64_e32 v[62:63], v[14:15], v[62:63]
	;; [unrolled: 1-line block ×5, first 2 shown]
	v_add_f64_e64 v[32:33], v[28:29], -v[44:45]
	v_add_f64_e64 v[28:29], v[108:109], -v[132:133]
	v_fma_f64 v[173:174], v[229:230], s[0:1], v[197:198]
	v_add_f64_e32 v[82:83], v[82:83], v[140:141]
	v_add_f64_e64 v[140:141], v[26:27], -v[134:135]
	v_add_f64_e32 v[18:19], v[30:31], v[46:47]
	v_add_f64_e64 v[34:35], v[30:31], -v[46:47]
	v_add_f64_e32 v[30:31], v[191:192], v[108:109]
	v_fma_f64 v[108:109], v[98:99], s[14:15], v[203:204]
	v_add_f64_e32 v[56:57], v[56:57], v[106:107]
	v_add_f64_e64 v[106:107], v[24:25], -v[132:133]
	v_add_f64_e32 v[104:105], v[104:105], v[130:131]
	v_add_f64_e32 v[58:59], v[58:59], v[128:129]
	v_add_f64_e64 v[128:129], v[132:133], -v[24:25]
	v_fma_f64 v[74:75], v[163:164], s[10:11], v[74:75]
	v_fma_f64 v[163:164], v[163:164], s[10:11], v[0:1]
	;; [unrolled: 1-line block ×4, first 2 shown]
	v_add_f64_e32 v[142:143], v[142:143], v[76:77]
	v_add_f64_e32 v[144:145], v[144:145], v[86:87]
	;; [unrolled: 1-line block ×3, first 2 shown]
	v_fma_f64 v[132:133], v[207:208], s[14:15], v[187:188]
	v_fma_f64 v[108:109], v[54:55], s[12:13], v[108:109]
	v_add_f64_e32 v[106:107], v[235:236], v[106:107]
	v_add_f64_e32 v[128:129], v[237:238], v[128:129]
	v_fma_f64 v[0:1], v[4:5], s[4:5], v[0:1]
	v_fma_f64 v[2:3], v[4:5], s[12:13], v[2:3]
	v_add_f64_e32 v[142:143], v[142:143], v[84:85]
	v_add_f64_e32 v[24:25], v[30:31], v[24:25]
	v_fma_f64 v[108:109], v[56:57], s[10:11], v[108:109]
	v_fma_f64 v[165:166], v[6:7], s[10:11], v[0:1]
	;; [unrolled: 1-line block ×26, first 2 shown]
	v_mul_f64_e32 v[152:153], s[14:15], v[0:1]
	v_mul_f64_e32 v[0:1], s[10:11], v[0:1]
	v_fma_f64 v[64:65], v[159:160], s[12:13], v[66:67]
	v_fma_f64 v[66:67], v[159:160], s[4:5], v[72:73]
	;; [unrolled: 1-line block ×7, first 2 shown]
	v_mul_f64_e32 v[40:41], s[12:13], v[22:23]
	v_add_f64_e32 v[193:194], v[94:95], v[102:103]
	v_add_f64_e64 v[154:155], v[84:85], -v[76:77]
	v_add_f64_e64 v[76:77], v[76:77], -v[84:85]
	v_fma_f64 v[84:85], v[221:222], -0.5, v[94:95]
	v_fma_f64 v[94:95], v[231:232], -0.5, v[94:95]
	v_fma_f64 v[152:153], v[6:7], s[10:11], v[152:153]
	v_fma_f64 v[6:7], v[6:7], s[0:1], v[0:1]
	v_fma_f64 v[64:65], v[38:39], s[10:11], v[64:65]
	v_fma_f64 v[66:67], v[38:39], s[10:11], v[66:67]
	v_fma_f64 v[72:73], v[161:162], s[10:11], v[72:73]
	v_fma_f64 v[148:149], v[42:43], s[10:11], v[148:149]
	v_fma_f64 v[167:168], v[42:43], s[10:11], v[4:5]
	v_fma_f64 v[10:11], v[161:162], s[10:11], v[10:11]
	v_add_f64_e64 v[161:162], v[86:87], -v[78:79]
	v_add_f64_e64 v[78:79], v[78:79], -v[86:87]
	v_fma_f64 v[86:87], v[205:206], -0.5, v[92:93]
	v_fma_f64 v[92:93], v[227:228], -0.5, v[92:93]
	v_add_f64_e32 v[154:155], v[183:184], v[154:155]
	v_add_f64_e32 v[76:77], v[219:220], v[76:77]
	;; [unrolled: 1-line block ×3, first 2 shown]
	v_add_f64_e64 v[4:5], v[74:75], -v[152:153]
	v_add_f64_e64 v[74:75], v[102:103], -v[26:27]
	v_fma_f64 v[152:153], v[98:99], s[0:1], v[203:204]
	v_add_f64_e32 v[38:39], v[165:166], v[6:7]
	v_add_f64_e64 v[6:7], v[165:166], -v[6:7]
	v_mul_f64_e32 v[150:151], s[4:5], v[72:73]
	v_fma_f64 v[40:41], v[72:73], s[20:21], v[40:41]
	v_mul_f64_e32 v[72:73], s[14:15], v[2:3]
	v_mul_f64_e32 v[2:3], s[16:17], v[2:3]
	v_fma_f64 v[165:166], v[215:216], s[14:15], v[185:186]
	v_add_f64_e32 v[161:162], v[223:224], v[161:162]
	v_add_f64_e32 v[70:71], v[70:71], v[78:79]
	v_fma_f64 v[130:131], v[74:75], s[14:15], v[86:87]
	v_fma_f64 v[86:87], v[74:75], s[0:1], v[86:87]
	;; [unrolled: 1-line block ×3, first 2 shown]
	v_mul_f64_e32 v[22:23], s[12:13], v[8:9]
	v_mul_f64_e32 v[8:9], s[18:19], v[8:9]
	v_fma_f64 v[72:73], v[20:21], s[16:17], v[72:73]
	v_fma_f64 v[159:160], v[20:21], s[0:1], v[2:3]
	v_add_f64_e32 v[20:21], v[64:65], v[40:41]
	v_add_f64_e64 v[0:1], v[64:65], -v[40:41]
	v_add_f64_e32 v[64:65], v[193:194], v[110:111]
	v_fma_f64 v[130:131], v[233:234], s[12:13], v[130:131]
	v_fma_f64 v[86:87], v[233:234], s[4:5], v[86:87]
	v_add_f64_e64 v[2:3], v[148:149], -v[150:151]
	v_fma_f64 v[169:170], v[10:11], s[18:19], v[22:23]
	v_fma_f64 v[189:190], v[10:11], s[4:5], v[8:9]
	v_add_f64_e32 v[40:41], v[163:164], v[72:73]
	v_add_f64_e64 v[8:9], v[163:164], -v[72:73]
	v_add_f64_e64 v[72:73], v[110:111], -v[102:103]
	v_add_f64_e32 v[22:23], v[148:149], v[150:151]
	v_fma_f64 v[148:149], v[96:97], s[14:15], v[201:202]
	v_fma_f64 v[150:151], v[28:29], s[14:15], v[94:95]
	;; [unrolled: 1-line block ×3, first 2 shown]
	v_add_f64_e32 v[42:43], v[175:176], v[159:160]
	v_add_f64_e64 v[10:11], v[175:176], -v[159:160]
	v_fma_f64 v[159:160], v[207:208], s[0:1], v[187:188]
	v_add_f64_e32 v[64:65], v[64:65], v[134:135]
	v_fma_f64 v[163:164], v[215:216], s[0:1], v[185:186]
	v_fma_f64 v[175:176], v[68:69], s[14:15], v[199:200]
	;; [unrolled: 1-line block ×4, first 2 shown]
	v_add_f64_e32 v[44:45], v[66:67], v[169:170]
	v_add_f64_e64 v[12:13], v[66:67], -v[169:170]
	v_add_f64_e64 v[66:67], v[102:103], -v[110:111]
	v_fma_f64 v[110:111], v[80:81], s[14:15], v[50:51]
	v_fma_f64 v[50:51], v[80:81], s[0:1], v[50:51]
	v_fma_f64 v[102:103], v[96:97], s[0:1], v[201:202]
	v_add_f64_e32 v[46:47], v[167:168], v[189:190]
	v_fma_f64 v[150:151], v[100:101], s[4:5], v[150:151]
	v_fma_f64 v[94:95], v[100:101], s[12:13], v[94:95]
	v_add_f64_e64 v[14:15], v[167:168], -v[189:190]
	v_fma_f64 v[167:168], v[181:182], s[0:1], v[195:196]
	v_fma_f64 v[169:170], v[181:182], s[14:15], v[195:196]
	;; [unrolled: 1-line block ×3, first 2 shown]
	v_add_f64_e32 v[66:67], v[66:67], v[140:141]
	v_fma_f64 v[110:111], v[96:97], s[4:5], v[110:111]
	v_fma_f64 v[50:51], v[96:97], s[12:13], v[50:51]
	;; [unrolled: 1-line block ×5, first 2 shown]
	v_add_f64_e64 v[148:149], v[134:135], -v[26:27]
	v_fma_f64 v[84:85], v[100:101], s[14:15], v[84:85]
	v_fma_f64 v[140:141], v[54:55], s[0:1], v[48:49]
	;; [unrolled: 1-line block ×6, first 2 shown]
	v_mul_f64_e32 v[152:153], s[4:5], v[108:109]
	v_fma_f64 v[78:79], v[225:226], s[12:13], v[167:168]
	v_fma_f64 v[167:168], v[225:226], s[4:5], v[169:170]
	v_add_f64_e32 v[26:27], v[64:65], v[26:27]
	v_fma_f64 v[110:111], v[104:105], s[10:11], v[110:111]
	v_fma_f64 v[50:51], v[104:105], s[10:11], v[50:51]
	;; [unrolled: 1-line block ×5, first 2 shown]
	v_add_f64_e32 v[72:73], v[72:73], v[148:149]
	v_fma_f64 v[148:149], v[233:234], s[0:1], v[92:93]
	v_fma_f64 v[92:93], v[233:234], s[14:15], v[92:93]
	;; [unrolled: 1-line block ×7, first 2 shown]
	v_add_f64_e32 v[104:105], v[171:172], v[217:218]
	v_fma_f64 v[171:172], v[225:226], s[14:15], v[146:147]
	v_fma_f64 v[177:178], v[68:69], s[0:1], v[199:200]
	v_add_f64_e32 v[82:83], v[209:210], v[90:91]
	v_fma_f64 v[54:55], v[56:57], s[10:11], v[54:55]
	v_fma_f64 v[96:97], v[66:67], s[10:11], v[96:97]
	v_mul_f64_e32 v[90:91], s[12:13], v[102:103]
	v_mul_f64_e32 v[56:57], s[12:13], v[80:81]
	v_fma_f64 v[150:151], v[72:73], s[10:11], v[150:151]
	v_fma_f64 v[148:149], v[74:75], s[12:13], v[148:149]
	;; [unrolled: 1-line block ×12, first 2 shown]
	v_mul_f64_e32 v[146:147], s[14:15], v[110:111]
	v_mul_f64_e32 v[110:111], s[10:11], v[110:111]
	v_fma_f64 v[48:49], v[58:59], s[10:11], v[48:49]
	v_fma_f64 v[58:59], v[156:157], s[12:13], v[98:99]
	;; [unrolled: 1-line block ×5, first 2 shown]
	v_mul_f64_e32 v[159:160], s[14:15], v[50:51]
	v_mul_f64_e32 v[50:51], s[16:17], v[50:51]
	;; [unrolled: 1-line block ×4, first 2 shown]
	v_fma_f64 v[169:170], v[181:182], s[12:13], v[171:172]
	v_fma_f64 v[171:172], v[68:69], s[4:5], v[173:174]
	v_fma_f64 v[177:178], v[229:230], s[12:13], v[177:178]
	v_fma_f64 v[64:65], v[102:103], s[20:21], v[152:153]
	v_mul_f64_e32 v[163:164], s[12:13], v[96:97]
	v_fma_f64 v[30:31], v[108:109], s[20:21], v[90:91]
	v_mul_f64_e32 v[173:174], s[14:15], v[150:151]
	v_fma_f64 v[148:149], v[128:129], s[10:11], v[148:149]
	;; [unrolled: 2-line block ×3, first 2 shown]
	v_mul_f64_e32 v[128:129], s[14:15], v[72:73]
	v_mul_f64_e32 v[72:73], s[16:17], v[72:73]
	v_fma_f64 v[92:93], v[181:182], s[4:5], v[92:93]
	v_fma_f64 v[68:69], v[68:69], s[12:13], v[100:101]
	v_mul_f64_e32 v[100:101], s[12:13], v[28:29]
	v_mul_f64_e32 v[28:29], s[18:19], v[28:29]
	v_fma_f64 v[94:95], v[88:89], s[10:11], v[94:95]
	v_fma_f64 v[88:89], v[88:89], s[10:11], v[66:67]
	;; [unrolled: 1-line block ×19, first 2 shown]
	v_mul_u32_u24_e32 v48, 10, v112
	v_add_f64_e32 v[50:51], v[62:63], v[138:139]
	v_add_f64_e64 v[52:53], v[60:61], -v[136:137]
	v_add_f64_e64 v[54:55], v[62:63], -v[138:139]
	v_and_b32_e32 v138, 0xffff, v125
	v_lshl_add_u32 v115, v48, 4, 0
	v_fma_f64 v[130:131], v[130:131], s[20:21], v[163:164]
	v_fma_f64 v[163:164], v[70:71], s[10:11], v[175:176]
	v_add_f64_e32 v[48:49], v[60:61], v[136:137]
	ds_store_b128 v115, v[16:19]
	ds_store_b128 v115, v[20:23] offset:16
	v_fma_f64 v[159:160], v[148:149], s[10:11], v[173:174]
	v_fma_f64 v[148:149], v[148:149], s[0:1], v[150:151]
	;; [unrolled: 1-line block ×9, first 2 shown]
	ds_store_b128 v115, v[36:39] offset:32
	ds_store_b128 v115, v[40:43] offset:48
	;; [unrolled: 1-line block ×4, first 2 shown]
	v_add_f64_e64 v[68:69], v[94:95], -v[90:91]
	ds_store_b128 v115, v[0:3] offset:96
	ds_store_b128 v115, v[4:7] offset:112
	;; [unrolled: 1-line block ×4, first 2 shown]
	v_add_f64_e64 v[70:71], v[84:85], -v[102:103]
	v_add_f64_e32 v[56:57], v[66:67], v[30:31]
	v_add_f64_e64 v[60:61], v[66:67], -v[30:31]
	v_add_f64_e32 v[58:59], v[106:107], v[64:65]
	;; [unrolled: 2-line block ×3, first 2 shown]
	v_add_f64_e32 v[66:67], v[84:85], v[102:103]
	v_add_f64_e64 v[76:77], v[88:89], -v[110:111]
	v_add_f64_e64 v[78:79], v[108:109], -v[132:133]
	v_add_f64_e32 v[80:81], v[98:99], v[134:135]
	v_add_f64_e32 v[82:83], v[104:105], v[140:141]
	;; [unrolled: 1-line block ×4, first 2 shown]
	v_add_f64_e64 v[85:86], v[98:99], -v[134:135]
	v_add_f64_e64 v[87:88], v[104:105], -v[140:141]
	v_add_f64_e32 v[89:90], v[142:143], v[24:25]
	v_add_f64_e32 v[91:92], v[144:145], v[26:27]
	;; [unrolled: 1-line block ×3, first 2 shown]
	v_add_f64_e64 v[93:94], v[142:143], -v[24:25]
	v_add_f64_e64 v[95:96], v[144:145], -v[26:27]
	v_mul_i32_i24_e32 v84, 10, v114
	v_add_f64_e32 v[97:98], v[152:153], v[130:131]
	v_add_f64_e64 v[16:17], v[152:153], -v[130:131]
	v_mul_i32_i24_e32 v1, 10, v127
	v_add_f64_e64 v[18:19], v[156:157], -v[146:147]
	v_and_b32_e32 v137, 0xff, v127
	v_and_b32_e32 v136, 0xffff, v126
	v_add_f64_e32 v[106:107], v[163:164], v[148:149]
	v_add_f64_e32 v[104:105], v[150:151], v[159:160]
	;; [unrolled: 1-line block ×4, first 2 shown]
	v_add_f64_e64 v[28:29], v[150:151], -v[159:160]
	v_lshl_add_u32 v159, v84, 4, 0
	v_add_f64_e32 v[128:129], v[154:155], v[173:174]
	v_add_f64_e32 v[130:131], v[161:162], v[175:176]
	v_and_b32_e32 v84, 0xff, v112
	v_lshl_add_u32 v160, v1, 4, 0
	v_add_f64_e64 v[20:21], v[165:166], -v[169:170]
	v_add_f64_e64 v[22:23], v[167:168], -v[171:172]
	;; [unrolled: 1-line block ×3, first 2 shown]
	v_mul_lo_u16 v0, 0xcd, v84
	v_add_f64_e64 v[24:25], v[154:155], -v[173:174]
	v_add_f64_e64 v[26:27], v[161:162], -v[175:176]
	ds_store_b128 v159, v[48:51]
	ds_store_b128 v159, v[56:59] offset:16
	ds_store_b128 v159, v[64:67] offset:32
	ds_store_b128 v159, v[72:75] offset:48
	v_lshrrev_b16 v103, 11, v0
	ds_store_b128 v159, v[80:83] offset:64
	ds_store_b128 v159, v[52:55] offset:80
	;; [unrolled: 1-line block ×6, first 2 shown]
	ds_store_b128 v160, v[89:92]
	ds_store_b128 v160, v[97:100] offset:16
	v_mul_lo_u16 v0, v103, 10
	v_and_b32_e32 v85, 0xff, v114
	ds_store_b128 v160, v[104:107] offset:32
	ds_store_b128 v160, v[108:111] offset:48
	;; [unrolled: 1-line block ×4, first 2 shown]
	v_sub_nc_u16 v0, v112, v0
	v_mul_lo_u16 v1, 0xcd, v85
	v_mul_u32_u24_e32 v5, 0xcccd, v136
	ds_store_b128 v160, v[16:19] offset:96
	ds_store_b128 v160, v[28:31] offset:112
	v_and_b32_e32 v104, 0xff, v0
	v_lshrrev_b16 v98, 11, v1
	v_mul_lo_u16 v0, 0xcd, v137
	v_lshrrev_b32_e32 v102, 19, v5
	ds_store_b128 v160, v[20:23] offset:128
	ds_store_b128 v160, v[24:27] offset:144
	v_lshlrev_b32_e32 v1, 5, v104
	v_mul_lo_u16 v2, v98, 10
	v_lshrrev_b16 v99, 11, v0
	global_wb scope:SCOPE_SE
	s_wait_dscnt 0x0
	s_barrier_signal -1
	s_barrier_wait -1
	v_sub_nc_u16 v0, v114, v2
	v_mul_lo_u16 v2, v99, 10
	global_inv scope:SCOPE_SE
	global_load_b128 v[80:83], v1, s[8:9]
	v_mul_lo_u16 v20, v102, 10
	v_and_b32_e32 v100, 0xff, v0
	v_sub_nc_u16 v4, v127, v2
	v_mul_u32_u24_e32 v21, 0xcccd, v138
	v_and_b32_e32 v139, 0xffff, v124
	v_sub_nc_u16 v20, v126, v20
	v_lshlrev_b32_e32 v8, 5, v100
	v_and_b32_e32 v101, 0xff, v4
	v_lshrrev_b32_e32 v93, 19, v21
	v_and_b32_e32 v169, 0xffff, v123
	v_and_b32_e32 v105, 0xffff, v20
	global_load_b128 v[4:7], v8, s[8:9]
	v_lshlrev_b32_e32 v9, 5, v101
	s_clause 0x3
	global_load_b128 v[0:3], v1, s[8:9] offset:16
	global_load_b128 v[16:19], v8, s[8:9] offset:16
	global_load_b128 v[12:15], v9, s[8:9]
	global_load_b128 v[8:11], v9, s[8:9] offset:16
	v_mul_u32_u24_e32 v20, 0xcccd, v139
	v_mul_lo_u16 v21, v93, 10
	v_lshlrev_b32_e32 v22, 5, v105
	v_and_b32_e32 v170, 0xffff, v122
	v_and_b32_e32 v171, 0xffff, v121
	v_lshrrev_b32_e32 v92, 19, v20
	v_sub_nc_u16 v20, v125, v21
	s_clause 0x1
	global_load_b128 v[28:31], v22, s[8:9]
	global_load_b128 v[60:63], v22, s[8:9] offset:16
	v_mul_u32_u24_e32 v22, 0xcccd, v169
	v_mul_lo_u16 v21, v92, 10
	v_and_b32_e32 v94, 0xffff, v20
	v_mul_u32_u24_e32 v33, 0xcccd, v171
	v_and_b32_e32 v172, 0xffff, v120
	v_lshrrev_b32_e32 v95, 19, v22
	v_sub_nc_u16 v20, v124, v21
	v_lshlrev_b32_e32 v21, 5, v94
	v_mul_u32_u24_e32 v22, 0xcccd, v170
	v_lshrrev_b32_e32 v88, 19, v33
	v_mul_u32_u24_e32 v33, 0xcccd, v172
	v_and_b32_e32 v96, 0xffff, v20
	s_clause 0x1
	global_load_b128 v[64:67], v21, s[8:9]
	global_load_b128 v[72:75], v21, s[8:9] offset:16
	v_mul_lo_u16 v21, v95, 10
	v_lshrrev_b32_e32 v86, 19, v22
	v_lshlrev_b32_e32 v20, 5, v96
	v_mul_lo_u16 v34, v88, 10
	v_lshrrev_b32_e32 v89, 19, v33
	v_sub_nc_u16 v21, v123, v21
	v_lshl_add_u32 v167, v126, 4, 0
	s_clause 0x1
	global_load_b128 v[68:71], v20, s[8:9]
	global_load_b128 v[36:39], v20, s[8:9] offset:16
	v_sub_nc_u16 v33, v121, v34
	v_and_b32_e32 v97, 0xffff, v21
	v_mul_lo_u16 v21, v86, 10
	v_mul_lo_u16 v34, v89, 10
	v_mad_i32_i24 v168, 0xffffff70, v114, v159
	v_and_b32_e32 v91, 0xffff, v33
	v_lshlrev_b32_e32 v20, 5, v97
	v_sub_nc_u16 v21, v122, v21
	v_sub_nc_u16 v33, v120, v34
	v_mad_i32_i24 v115, 0xffffff70, v127, v160
	v_lshlrev_b32_e32 v34, 5, v91
	global_load_b128 v[24:27], v20, s[8:9]
	v_and_b32_e32 v87, 0xffff, v21
	v_and_b32_e32 v90, 0xffff, v33
	;; [unrolled: 1-line block ×3, first 2 shown]
	v_lshlrev_b32_e32 v205, 4, v104
	v_and_b32_e32 v98, 0xffff, v98
	v_lshlrev_b32_e32 v32, 5, v87
	v_lshlrev_b32_e32 v56, 5, v90
	s_mov_b32 s4, 0xe8584caa
	s_mov_b32 s5, 0xbfebb67a
	;; [unrolled: 1-line block ×3, first 2 shown]
	s_clause 0x6
	global_load_b128 v[52:55], v32, s[8:9]
	global_load_b128 v[20:23], v20, s[8:9] offset:16
	global_load_b128 v[48:51], v32, s[8:9] offset:16
	global_load_b128 v[40:43], v34, s[8:9]
	global_load_b128 v[32:35], v34, s[8:9] offset:16
	global_load_b128 v[44:47], v56, s[8:9]
	global_load_b128 v[56:59], v56, s[8:9] offset:16
	ds_load_b128 v[106:109], v158 offset:12960
	ds_load_b128 v[128:131], v158 offset:25920
	;; [unrolled: 1-line block ×4, first 2 shown]
	ds_load_b128 v[144:147], v158
	ds_load_b128 v[148:151], v158 offset:15552
	ds_load_b128 v[152:155], v158 offset:28512
	ds_load_b128 v[76:79], v158 offset:24624
	ds_load_b128 v[161:164], v158 offset:16848
	ds_load_b128 v[173:176], v158 offset:29808
	ds_load_b128 v[177:180], v158 offset:18144
	ds_load_b128 v[181:184], v158 offset:31104
	ds_load_b128 v[185:188], v158 offset:19440
	s_wait_alu 0xfffe
	s_mov_b32 s10, s4
	v_mul_u32_u24_e32 v102, 0x1e0, v102
	v_lshlrev_b32_e32 v105, 4, v105
	v_mul_u32_u24_e32 v93, 0x1e0, v93
	v_lshlrev_b32_e32 v94, 4, v94
	;; [unrolled: 2-line block ×3, first 2 shown]
	v_add3_u32 v102, 0, v102, v105
	v_cmp_gt_u32_e64 s0, 9, v112
	s_mov_b32 s1, exec_lo
	s_wait_loadcnt_dscnt 0x130c
	v_mul_f64_e32 v[110:111], v[108:109], v[82:83]
	v_mul_f64_e32 v[82:83], v[106:107], v[82:83]
	s_wait_loadcnt_dscnt 0x120a
	v_mul_f64_e32 v[165:166], v[134:135], v[6:7]
	v_mul_f64_e32 v[6:7], v[132:133], v[6:7]
	s_wait_loadcnt 0x11
	v_mul_f64_e32 v[156:157], v[130:131], v[2:3]
	v_mul_f64_e32 v[2:3], v[128:129], v[2:3]
	s_wait_loadcnt_dscnt 0x1009
	v_mul_f64_e32 v[189:190], v[142:143], v[18:19]
	v_mul_f64_e32 v[18:19], v[140:141], v[18:19]
	s_wait_loadcnt_dscnt 0xf07
	v_mul_f64_e32 v[191:192], v[150:151], v[14:15]
	s_wait_loadcnt_dscnt 0xe06
	v_mul_f64_e32 v[193:194], v[154:155], v[10:11]
	v_mul_f64_e32 v[195:196], v[148:149], v[14:15]
	;; [unrolled: 1-line block ×3, first 2 shown]
	s_wait_loadcnt_dscnt 0xd04
	v_mul_f64_e32 v[197:198], v[163:164], v[30:31]
	v_mul_f64_e32 v[30:31], v[161:162], v[30:31]
	v_fma_f64 v[106:107], v[106:107], v[80:81], v[110:111]
	s_wait_loadcnt_dscnt 0xc03
	v_mul_f64_e32 v[110:111], v[175:176], v[62:63]
	v_fma_f64 v[108:109], v[108:109], v[80:81], -v[82:83]
	s_wait_loadcnt_dscnt 0xa01
	v_mul_f64_e32 v[199:200], v[183:184], v[74:75]
	v_mul_f64_e32 v[62:63], v[173:174], v[62:63]
	;; [unrolled: 1-line block ×3, first 2 shown]
	v_fma_f64 v[132:133], v[132:133], v[4:5], v[165:166]
	v_fma_f64 v[134:135], v[134:135], v[4:5], -v[6:7]
	v_fma_f64 v[128:129], v[128:129], v[0:1], v[156:157]
	v_fma_f64 v[130:131], v[130:131], v[0:1], -v[2:3]
	ds_load_b128 v[0:3], v158 offset:32400
	ds_load_b128 v[4:7], v158 offset:20736
	v_mul_f64_e32 v[156:157], v[179:180], v[66:67]
	v_mul_f64_e32 v[66:67], v[177:178], v[66:67]
	v_fma_f64 v[140:141], v[140:141], v[16:17], v[189:190]
	v_fma_f64 v[18:19], v[142:143], v[16:17], -v[18:19]
	ds_load_b128 v[14:17], v158 offset:33696
	s_wait_loadcnt_dscnt 0x903
	v_mul_f64_e32 v[142:143], v[187:188], v[70:71]
	v_mul_f64_e32 v[70:71], v[185:186], v[70:71]
	v_fma_f64 v[148:149], v[148:149], v[12:13], v[191:192]
	v_fma_f64 v[152:153], v[152:153], v[8:9], v[193:194]
	v_fma_f64 v[12:13], v[150:151], v[12:13], -v[195:196]
	v_fma_f64 v[150:151], v[154:155], v[8:9], -v[10:11]
	ds_load_b128 v[8:11], v158 offset:22032
	ds_load_b128 v[80:83], v167
	v_fma_f64 v[193:194], v[161:162], v[28:29], v[197:198]
	v_fma_f64 v[30:31], v[163:164], v[28:29], -v[30:31]
	v_mul_u32_u24_e32 v163, 0x1e0, v103
	v_lshl_add_u32 v166, v125, 4, 0
	v_lshl_add_u32 v165, v124, 4, 0
	;; [unrolled: 1-line block ×3, first 2 shown]
	s_wait_loadcnt_dscnt 0x804
	v_mul_f64_e32 v[154:155], v[2:3], v[38:39]
	v_mul_f64_e32 v[38:39], v[0:1], v[38:39]
	s_wait_loadcnt_dscnt 0x703
	v_mul_f64_e32 v[189:190], v[6:7], v[26:27]
	v_mul_f64_e32 v[191:192], v[4:5], v[26:27]
	v_fma_f64 v[110:111], v[173:174], v[60:61], v[110:111]
	ds_load_b128 v[26:29], v158 offset:34992
	s_wait_loadcnt_dscnt 0x503
	v_mul_f64_e32 v[161:162], v[16:17], v[22:23]
	v_mul_f64_e32 v[22:23], v[14:15], v[22:23]
	v_fma_f64 v[173:174], v[175:176], v[60:61], -v[62:63]
	ds_load_b128 v[60:63], v158 offset:23328
	v_add3_u32 v211, 0, v163, v205
	v_lshl_add_u32 v163, v122, 4, 0
	s_wait_dscnt 0x3
	v_mul_f64_e32 v[175:176], v[10:11], v[54:55]
	v_mul_f64_e32 v[54:55], v[8:9], v[54:55]
	v_add_f64_e32 v[195:196], v[108:109], v[130:131]
	v_fma_f64 v[156:157], v[177:178], v[64:65], v[156:157]
	v_fma_f64 v[177:178], v[179:180], v[64:65], -v[66:67]
	v_fma_f64 v[179:180], v[181:182], v[72:73], v[199:200]
	v_add_f64_e32 v[181:182], v[106:107], v[128:129]
	v_fma_f64 v[72:73], v[183:184], v[72:73], -v[74:75]
	v_fma_f64 v[74:75], v[185:186], v[68:69], v[142:143]
	v_add_f64_e32 v[142:143], v[132:133], v[140:141]
	v_add_f64_e32 v[183:184], v[134:135], v[18:19]
	v_fma_f64 v[185:186], v[187:188], v[68:69], -v[70:71]
	v_add_f64_e32 v[187:188], v[148:149], v[152:153]
	v_add_f64_e32 v[197:198], v[12:13], v[150:151]
	ds_load_b128 v[64:67], v158 offset:36288
	ds_load_b128 v[68:71], v158 offset:37584
	v_fma_f64 v[154:155], v[0:1], v[36:37], v[154:155]
	v_fma_f64 v[199:200], v[2:3], v[36:37], -v[38:39]
	ds_load_b128 v[0:3], v168
	ds_load_b128 v[36:39], v115
	v_fma_f64 v[103:104], v[4:5], v[24:25], v[189:190]
	v_fma_f64 v[189:190], v[6:7], v[24:25], -v[191:192]
	s_wait_loadcnt_dscnt 0x304
	v_mul_f64_e32 v[24:25], v[62:63], v[42:43]
	v_fma_f64 v[191:192], v[14:15], v[20:21], v[161:162]
	v_mul_f64_e32 v[4:5], v[28:29], v[50:51]
	v_mul_f64_e32 v[6:7], v[26:27], v[50:51]
	;; [unrolled: 1-line block ×3, first 2 shown]
	v_fma_f64 v[201:202], v[16:17], v[20:21], -v[22:23]
	s_wait_loadcnt 0x1
	v_mul_f64_e32 v[20:21], v[78:79], v[46:47]
	s_wait_dscnt 0x3
	v_mul_f64_e32 v[14:15], v[66:67], v[34:35]
	v_mul_f64_e32 v[16:17], v[64:65], v[34:35]
	v_add_f64_e32 v[34:35], v[144:145], v[106:107]
	v_mul_f64_e32 v[22:23], v[76:77], v[46:47]
	v_fma_f64 v[175:176], v[8:9], v[52:53], v[175:176]
	v_fma_f64 v[203:204], v[10:11], v[52:53], -v[54:55]
	s_wait_loadcnt_dscnt 0x2
	v_mul_f64_e32 v[8:9], v[70:71], v[58:59]
	v_add_f64_e32 v[10:11], v[146:147], v[108:109]
	v_fma_f64 v[52:53], v[195:196], -0.5, v[146:147]
	s_wait_dscnt 0x1
	v_add_f64_e32 v[46:47], v[2:3], v[134:135]
	v_fma_f64 v[50:51], v[181:182], -0.5, v[144:145]
	v_add_f64_e32 v[144:145], v[193:194], v[110:111]
	v_add_f64_e32 v[54:55], v[0:1], v[132:133]
	v_fma_f64 v[142:143], v[142:143], -0.5, v[0:1]
	v_fma_f64 v[146:147], v[183:184], -0.5, v[2:3]
	v_add_f64_e32 v[0:1], v[30:31], v[173:174]
	v_mul_f64_e32 v[2:3], v[68:69], v[58:59]
	s_wait_dscnt 0x0
	v_add_f64_e32 v[181:182], v[38:39], v[12:13]
	v_fma_f64 v[183:184], v[187:188], -0.5, v[36:37]
	v_fma_f64 v[187:188], v[197:198], -0.5, v[38:39]
	v_add_f64_e64 v[38:39], v[108:109], -v[130:131]
	v_add_f64_e64 v[58:59], v[106:107], -v[128:129]
	v_and_b32_e32 v161, 0xffff, v99
	v_mul_u32_u24_e32 v162, 0x1e0, v98
	v_add_f64_e64 v[98:99], v[134:135], -v[18:19]
	v_add_f64_e64 v[106:107], v[132:133], -v[140:141]
	v_add_f64_e32 v[36:37], v[36:37], v[148:149]
	v_lshlrev_b32_e32 v132, 4, v100
	v_lshlrev_b32_e32 v133, 4, v101
	v_add_f64_e64 v[100:101], v[12:13], -v[150:151]
	v_add_f64_e64 v[108:109], v[148:149], -v[152:153]
	v_fma_f64 v[148:149], v[60:61], v[40:41], v[24:25]
	v_add_f64_e32 v[60:61], v[82:83], v[30:31]
	v_mul_u32_u24_e32 v134, 0x1e0, v161
	v_add3_u32 v212, 0, v162, v132
	v_fma_f64 v[195:196], v[62:63], v[40:41], -v[42:43]
	v_add_f64_e64 v[205:206], v[30:31], -v[173:174]
	v_fma_f64 v[76:77], v[76:77], v[44:45], v[20:21]
	v_fma_f64 v[197:198], v[64:65], v[32:33], v[14:15]
	v_add_f64_e32 v[64:65], v[80:81], v[193:194]
	v_add3_u32 v213, 0, v134, v133
	v_fma_f64 v[132:133], v[26:27], v[48:49], v[4:5]
	v_fma_f64 v[134:135], v[28:29], v[48:49], -v[6:7]
	v_add_f64_e64 v[193:194], v[193:194], -v[110:111]
	v_fma_f64 v[78:79], v[78:79], v[44:45], -v[22:23]
	v_fma_f64 v[207:208], v[68:69], v[56:57], v[8:9]
	v_lshl_add_u32 v162, v121, 4, 0
	v_add_f64_e32 v[6:7], v[46:47], v[18:19]
	v_lshl_add_u32 v161, v120, 4, 0
	v_fma_f64 v[80:81], v[144:145], -0.5, v[80:81]
	v_fma_f64 v[144:145], v[66:67], v[32:33], -v[16:17]
	v_add_f64_e32 v[4:5], v[54:55], v[140:141]
	v_fma_f64 v[82:83], v[0:1], -0.5, v[82:83]
	v_fma_f64 v[209:210], v[70:71], v[56:57], -v[2:3]
	v_add_f64_e32 v[2:3], v[10:11], v[130:131]
	v_add_f64_e32 v[0:1], v[34:35], v[128:129]
	;; [unrolled: 1-line block ×3, first 2 shown]
	v_fma_f64 v[8:9], v[38:39], s[4:5], v[50:51]
	s_wait_alu 0xfffe
	v_fma_f64 v[10:11], v[58:59], s[10:11], v[52:53]
	v_fma_f64 v[12:13], v[38:39], s[10:11], v[50:51]
	;; [unrolled: 1-line block ×7, first 2 shown]
	v_add_f64_e32 v[98:99], v[156:157], v[179:180]
	v_add_f64_e32 v[105:106], v[177:178], v[72:73]
	;; [unrolled: 1-line block ×3, first 2 shown]
	v_fma_f64 v[28:29], v[100:101], s[4:5], v[183:184]
	v_add_f64_e32 v[128:129], v[74:75], v[154:155]
	v_fma_f64 v[40:41], v[100:101], s[10:11], v[183:184]
	v_add_f64_e32 v[100:101], v[185:186], v[199:200]
	v_fma_f64 v[30:31], v[108:109], s[10:11], v[187:188]
	v_fma_f64 v[42:43], v[108:109], s[4:5], v[187:188]
	v_add_f64_e32 v[62:63], v[60:61], v[173:174]
	v_add_f64_e32 v[107:108], v[103:104], v[191:192]
	;; [unrolled: 1-line block ×6, first 2 shown]
	ds_load_b128 v[32:35], v166
	ds_load_b128 v[36:39], v165
	v_add_f64_e32 v[142:143], v[148:149], v[197:198]
	ds_load_b128 v[44:47], v164
	ds_load_b128 v[48:51], v163
	;; [unrolled: 1-line block ×4, first 2 shown]
	global_wb scope:SCOPE_SE
	s_wait_dscnt 0x0
	s_barrier_signal -1
	s_barrier_wait -1
	v_fma_f64 v[64:65], v[205:206], s[4:5], v[80:81]
	v_add_f64_e32 v[146:147], v[195:196], v[144:145]
	global_inv scope:SCOPE_SE
	v_add_f64_e32 v[150:151], v[76:77], v[207:208]
	v_fma_f64 v[66:67], v[193:194], s[10:11], v[82:83]
	ds_store_b128 v211, v[0:3]
	ds_store_b128 v211, v[8:11] offset:160
	ds_store_b128 v211, v[12:15] offset:320
	ds_store_b128 v212, v[4:7]
	ds_store_b128 v212, v[16:19] offset:160
	ds_store_b128 v212, v[20:23] offset:320
	v_add_f64_e32 v[0:1], v[78:79], v[209:210]
	v_add_f64_e32 v[2:3], v[34:35], v[177:178]
	;; [unrolled: 1-line block ×3, first 2 shown]
	v_add_f64_e64 v[8:9], v[177:178], -v[72:73]
	v_add_f64_e64 v[12:13], v[156:157], -v[179:180]
	v_fma_f64 v[6:7], v[98:99], -0.5, v[32:33]
	v_fma_f64 v[10:11], v[105:106], -0.5, v[34:35]
	ds_store_b128 v213, v[24:27]
	ds_store_b128 v213, v[28:31] offset:160
	v_fma_f64 v[18:19], v[128:129], -0.5, v[36:37]
	v_add_f64_e32 v[16:17], v[36:37], v[74:75]
	v_add_f64_e64 v[20:21], v[185:186], -v[199:200]
	v_fma_f64 v[22:23], v[100:101], -0.5, v[38:39]
	v_add_f64_e64 v[24:25], v[74:75], -v[154:155]
	v_add_f64_e32 v[26:27], v[46:47], v[189:190]
	v_add_f64_e32 v[28:29], v[44:45], v[103:104]
	v_add_f64_e32 v[14:15], v[38:39], v[185:186]
	v_fma_f64 v[30:31], v[107:108], -0.5, v[44:45]
	v_fma_f64 v[34:35], v[109:110], -0.5, v[46:47]
	v_add_f64_e64 v[32:33], v[189:190], -v[201:202]
	v_add_f64_e64 v[36:37], v[103:104], -v[191:192]
	ds_store_b128 v213, v[40:43] offset:320
	v_fma_f64 v[42:43], v[130:131], -0.5, v[48:49]
	v_fma_f64 v[46:47], v[140:141], -0.5, v[50:51]
	v_add_f64_e32 v[38:39], v[50:51], v[203:204]
	v_add_f64_e32 v[40:41], v[48:49], v[175:176]
	v_add_f64_e64 v[44:45], v[203:204], -v[134:135]
	v_add_f64_e64 v[48:49], v[175:176], -v[132:133]
	v_fma_f64 v[68:69], v[205:206], s[10:11], v[80:81]
	v_fma_f64 v[70:71], v[193:194], s[4:5], v[82:83]
	ds_store_b128 v102, v[60:63]
	ds_store_b128 v102, v[64:67] offset:160
	v_fma_f64 v[60:61], v[142:143], -0.5, v[52:53]
	v_fma_f64 v[62:63], v[146:147], -0.5, v[54:55]
	v_add_f64_e32 v[50:51], v[54:55], v[195:196]
	v_add_f64_e32 v[52:53], v[52:53], v[148:149]
	v_add_f64_e64 v[54:55], v[195:196], -v[144:145]
	v_add_f64_e64 v[64:65], v[148:149], -v[197:198]
	v_add_f64_e32 v[80:81], v[58:59], v[78:79]
	v_add_f64_e32 v[82:83], v[56:57], v[76:77]
	v_fma_f64 v[66:67], v[150:151], -0.5, v[56:57]
	v_fma_f64 v[74:75], v[0:1], -0.5, v[58:59]
	v_add_f64_e64 v[78:79], v[78:79], -v[209:210]
	v_add_f64_e64 v[76:77], v[76:77], -v[207:208]
	v_add_f64_e32 v[2:3], v[2:3], v[72:73]
	v_add_f64_e32 v[0:1], v[4:5], v[179:180]
	v_fma_f64 v[4:5], v[8:9], s[4:5], v[6:7]
	v_fma_f64 v[8:9], v[8:9], s[10:11], v[6:7]
	;; [unrolled: 1-line block ×4, first 2 shown]
	v_add_f64_e32 v[12:13], v[16:17], v[154:155]
	v_fma_f64 v[16:17], v[20:21], s[4:5], v[18:19]
	v_fma_f64 v[20:21], v[20:21], s[10:11], v[18:19]
	;; [unrolled: 1-line block ×4, first 2 shown]
	v_add_f64_e32 v[26:27], v[26:27], v[201:202]
	v_add_f64_e32 v[24:25], v[28:29], v[191:192]
	;; [unrolled: 1-line block ×3, first 2 shown]
	v_fma_f64 v[28:29], v[32:33], s[4:5], v[30:31]
	v_fma_f64 v[32:33], v[32:33], s[10:11], v[30:31]
	;; [unrolled: 1-line block ×4, first 2 shown]
	v_add_f64_e32 v[38:39], v[38:39], v[134:135]
	v_add_f64_e32 v[36:37], v[40:41], v[132:133]
	v_fma_f64 v[40:41], v[44:45], s[4:5], v[42:43]
	v_fma_f64 v[44:45], v[44:45], s[10:11], v[42:43]
	;; [unrolled: 1-line block ×4, first 2 shown]
	ds_store_b128 v102, v[68:71] offset:320
	v_add3_u32 v68, 0, v92, v96
	v_add_f64_e32 v[50:51], v[50:51], v[144:145]
	v_add_f64_e32 v[48:49], v[52:53], v[197:198]
	v_fma_f64 v[52:53], v[54:55], s[4:5], v[60:61]
	v_fma_f64 v[56:57], v[54:55], s[10:11], v[60:61]
	;; [unrolled: 1-line block ×4, first 2 shown]
	v_add_f64_e32 v[62:63], v[80:81], v[209:210]
	v_add_f64_e32 v[60:61], v[82:83], v[207:208]
	v_fma_f64 v[64:65], v[78:79], s[4:5], v[66:67]
	v_fma_f64 v[72:73], v[78:79], s[10:11], v[66:67]
	;; [unrolled: 1-line block ×4, first 2 shown]
	v_add3_u32 v76, 0, v93, v94
	v_mul_u32_u24_e32 v77, 0x1e0, v95
	v_lshlrev_b32_e32 v78, 4, v97
	ds_store_b128 v76, v[0:3]
	ds_store_b128 v76, v[4:7] offset:160
	v_mul_lo_u16 v1, 0x89, v84
	v_add3_u32 v0, 0, v77, v78
	v_mul_u32_u24_e32 v2, 0x1e0, v86
	v_lshlrev_b32_e32 v3, 4, v87
	v_mul_u32_u24_e32 v4, 0x1e0, v88
	v_lshrrev_b16 v153, 12, v1
	v_lshlrev_b32_e32 v5, 4, v91
	ds_store_b128 v76, v[8:11] offset:320
	ds_store_b128 v68, v[12:15]
	ds_store_b128 v68, v[16:19] offset:160
	ds_store_b128 v68, v[20:23] offset:320
	ds_store_b128 v0, v[24:27]
	ds_store_b128 v0, v[28:31] offset:160
	ds_store_b128 v0, v[32:35] offset:320
	v_add3_u32 v0, 0, v2, v3
	v_mul_lo_u16 v2, v153, 30
	v_add3_u32 v1, 0, v4, v5
	v_mul_u32_u24_e32 v3, 0x1e0, v89
	v_lshlrev_b32_e32 v4, 4, v90
	ds_store_b128 v0, v[36:39]
	ds_store_b128 v0, v[40:43] offset:160
	v_sub_nc_u16 v2, v112, v2
	ds_store_b128 v0, v[44:47] offset:320
	ds_store_b128 v1, v[48:51]
	ds_store_b128 v1, v[52:55] offset:160
	v_add3_u32 v0, 0, v3, v4
	v_mul_lo_u16 v3, 0x89, v85
	v_and_b32_e32 v142, 0xff, v2
	v_mul_lo_u16 v2, 0x89, v137
	ds_store_b128 v1, v[56:59] offset:320
	ds_store_b128 v0, v[60:63]
	ds_store_b128 v0, v[64:67] offset:160
	ds_store_b128 v0, v[72:75] offset:320
	v_lshrrev_b16 v144, 12, v3
	v_lshlrev_b32_e32 v0, 5, v142
	v_lshrrev_b16 v146, 12, v2
	global_wb scope:SCOPE_SE
	s_wait_dscnt 0x0
	s_barrier_signal -1
	v_mul_lo_u16 v1, v144, 30
	s_barrier_wait -1
	global_inv scope:SCOPE_SE
	global_load_b128 v[4:7], v0, s[8:9] offset:320
	v_mul_lo_u16 v13, v146, 30
	v_sub_nc_u16 v1, v114, v1
	v_mul_u32_u24_e32 v14, 0x8889, v136
	v_mul_u32_u24_e32 v25, 0x8889, v139
	;; [unrolled: 1-line block ×3, first 2 shown]
	v_sub_nc_u16 v13, v127, v13
	v_and_b32_e32 v143, 0xff, v1
	v_lshrrev_b32_e32 v148, 20, v14
	v_lshrrev_b32_e32 v152, 20, v25
	;; [unrolled: 1-line block ×3, first 2 shown]
	v_and_b32_e32 v145, 0xff, v13
	v_mul_u32_u24_e32 v13, 0x8889, v138
	v_lshlrev_b32_e32 v12, 5, v143
	v_mul_lo_u16 v14, v148, 30
	v_mul_lo_u16 v25, v152, 30
	v_mul_u32_u24_e32 v48, 0x8889, v171
	v_lshrrev_b32_e32 v151, 20, v13
	s_clause 0x1
	global_load_b128 v[8:11], v12, s[8:9] offset:320
	global_load_b128 v[0:3], v0, s[8:9] offset:336
	v_sub_nc_u16 v13, v126, v14
	global_load_b128 v[20:23], v12, s[8:9] offset:336
	v_mul_lo_u16 v24, v151, 30
	v_sub_nc_u16 v40, v124, v25
	v_mul_lo_u16 v49, v156, 30
	v_and_b32_e32 v147, 0xffff, v13
	v_lshrrev_b32_e32 v157, 20, v48
	v_sub_nc_u16 v24, v125, v24
	v_and_b32_e32 v150, 0xffff, v40
	v_mul_u32_u24_e32 v40, 0x8889, v169
	v_lshlrev_b32_e32 v26, 5, v147
	v_mul_u32_u24_e32 v50, 0x8889, v172
	v_and_b32_e32 v149, 0xffff, v24
	v_lshlrev_b32_e32 v44, 5, v150
	v_lshrrev_b32_e32 v154, 20, v40
	global_load_b128 v[36:39], v26, s[8:9] offset:320
	v_lshlrev_b32_e32 v12, 5, v145
	v_lshlrev_b32_e32 v24, 5, v149
	v_sub_nc_u16 v48, v122, v49
	v_mul_lo_u16 v46, v154, 30
	v_mul_lo_u16 v51, v157, 30
	s_clause 0x5
	global_load_b128 v[16:19], v12, s[8:9] offset:320
	global_load_b128 v[12:15], v12, s[8:9] offset:336
	;; [unrolled: 1-line block ×6, first 2 shown]
	v_sub_nc_u16 v45, v123, v46
	v_lshrrev_b32_e32 v140, 20, v50
	v_and_b32_e32 v173, 0xffff, v48
	v_sub_nc_u16 v48, v121, v51
	v_and_b32_e32 v193, 0xffff, v153
	v_and_b32_e32 v155, 0xffff, v45
	global_load_b128 v[44:47], v44, s[8:9] offset:336
	v_mul_lo_u16 v50, v140, 30
	v_and_b32_e32 v174, 0xffff, v48
	v_mul_u32_u24_e32 v206, 0x5a0, v151
	v_lshlrev_b32_e32 v49, 5, v155
	v_mul_u32_u24_e32 v207, 0x5a0, v152
	v_sub_nc_u16 v48, v120, v50
	v_mul_u32_u24_e32 v208, 0x5a0, v154
	v_mul_u32_u24_e32 v209, 0x5a0, v156
	s_clause 0x1
	global_load_b128 v[68:71], v49, s[8:9] offset:320
	global_load_b128 v[56:59], v49, s[8:9] offset:336
	v_lshlrev_b32_e32 v49, 5, v173
	v_and_b32_e32 v141, 0xffff, v48
	v_mul_u32_u24_e32 v210, 0x5a0, v157
	v_and_b32_e32 v144, 0xffff, v144
	v_lshlrev_b32_e32 v212, 4, v143
	s_clause 0x1
	global_load_b128 v[60:63], v49, s[8:9] offset:320
	global_load_b128 v[72:75], v49, s[8:9] offset:336
	v_lshlrev_b32_e32 v49, 5, v174
	v_lshlrev_b32_e32 v76, 5, v141
	;; [unrolled: 1-line block ×3, first 2 shown]
	v_and_b32_e32 v146, 0xffff, v146
	v_mul_u32_u24_e32 v205, 0x5a0, v148
	s_clause 0x3
	global_load_b128 v[52:55], v49, s[8:9] offset:320
	global_load_b128 v[48:51], v49, s[8:9] offset:336
	;; [unrolled: 1-line block ×4, first 2 shown]
	ds_load_b128 v[96:99], v158 offset:12960
	ds_load_b128 v[92:95], v158 offset:25920
	;; [unrolled: 1-line block ×3, first 2 shown]
	ds_load_b128 v[80:83], v158
	ds_load_b128 v[108:111], v158 offset:27216
	ds_load_b128 v[84:87], v158 offset:24624
	;; [unrolled: 1-line block ×8, first 2 shown]
	v_lshlrev_b32_e32 v215, 4, v155
	v_mul_u32_u24_e32 v211, 0x5a0, v146
	v_lshlrev_b32_e32 v214, 4, v147
	v_mul_u32_u24_e32 v224, 0x5a0, v140
	v_lshlrev_b32_e32 v225, 4, v141
	v_add3_u32 v222, 0, v208, v215
	v_add3_u32 v218, 0, v211, v213
	;; [unrolled: 1-line block ×3, first 2 shown]
	s_wait_loadcnt_dscnt 0x130b
	v_mul_f64_e32 v[132:133], v[98:99], v[6:7]
	v_mul_f64_e32 v[134:135], v[96:97], v[6:7]
	s_wait_loadcnt_dscnt 0x1209
	v_mul_f64_e32 v[6:7], v[88:89], v[10:11]
	s_wait_loadcnt 0x11
	v_mul_f64_e32 v[128:129], v[94:95], v[2:3]
	v_mul_f64_e32 v[130:131], v[92:93], v[2:3]
	;; [unrolled: 1-line block ×3, first 2 shown]
	s_wait_loadcnt_dscnt 0x1007
	v_mul_f64_e32 v[10:11], v[110:111], v[22:23]
	v_mul_f64_e32 v[22:23], v[108:109], v[22:23]
	v_fma_f64 v[96:97], v[96:97], v[4:5], v[132:133]
	v_fma_f64 v[98:99], v[98:99], v[4:5], -v[134:135]
	s_wait_loadcnt_dscnt 0xf04
	v_mul_f64_e32 v[134:135], v[177:178], v[38:39]
	s_wait_loadcnt 0xe
	v_mul_f64_e32 v[187:188], v[106:107], v[18:19]
	v_mul_f64_e32 v[18:19], v[104:105], v[18:19]
	s_wait_loadcnt_dscnt 0xd03
	v_mul_f64_e32 v[189:190], v[102:103], v[14:15]
	v_mul_f64_e32 v[132:133], v[100:101], v[14:15]
	;; [unrolled: 1-line block ×3, first 2 shown]
	s_wait_loadcnt_dscnt 0xc02
	v_mul_f64_e32 v[156:157], v[181:182], v[34:35]
	v_mul_f64_e32 v[191:192], v[179:180], v[34:35]
	s_wait_loadcnt_dscnt 0xb01
	v_mul_f64_e32 v[199:200], v[183:184], v[30:31]
	v_fma_f64 v[197:198], v[90:91], v[8:9], -v[6:7]
	v_fma_f64 v[128:129], v[92:93], v[0:1], v[128:129]
	v_fma_f64 v[130:131], v[94:95], v[0:1], -v[130:131]
	ds_load_b128 v[92:95], v158 offset:19440
	v_mul_u32_u24_e32 v0, 0x5a0, v193
	v_mul_f64_e32 v[193:194], v[185:186], v[30:31]
	v_fma_f64 v[195:196], v[88:89], v[8:9], v[2:3]
	ds_load_b128 v[2:5], v158 offset:32400
	s_wait_loadcnt_dscnt 0xa02
	v_mul_f64_e32 v[201:202], v[153:154], v[26:27]
	v_mul_f64_e32 v[203:204], v[151:152], v[26:27]
	v_lshlrev_b32_e32 v30, 4, v142
	v_mul_u32_u24_e32 v1, 0x5a0, v144
	v_fma_f64 v[108:109], v[108:109], v[20:21], v[10:11]
	v_fma_f64 v[110:111], v[110:111], v[20:21], -v[22:23]
	ds_load_b128 v[6:9], v158 offset:20736
	v_add3_u32 v0, 0, v0, v30
	v_add3_u32 v217, 0, v1, v212
	v_fma_f64 v[104:105], v[104:105], v[16:17], v[187:188]
	v_fma_f64 v[106:107], v[106:107], v[16:17], -v[18:19]
	ds_load_b128 v[18:21], v158 offset:22032
	ds_load_b128 v[14:17], v158 offset:33696
	s_wait_loadcnt_dscnt 0x904
	v_mul_f64_e32 v[22:23], v[94:95], v[42:43]
	v_fma_f64 v[100:101], v[100:101], v[12:13], v[189:190]
	v_fma_f64 v[102:103], v[102:103], v[12:13], -v[132:133]
	ds_load_b128 v[10:13], v158 offset:34992
	ds_load_b128 v[88:91], v158 offset:23328
	v_fma_f64 v[132:133], v[175:176], v[36:37], v[134:135]
	v_fma_f64 v[134:135], v[177:178], v[36:37], -v[38:39]
	s_wait_loadcnt_dscnt 0x805
	v_mul_f64_e32 v[38:39], v[4:5], v[46:47]
	v_mul_f64_e32 v[46:47], v[2:3], v[46:47]
	v_fma_f64 v[142:143], v[179:180], v[32:33], v[156:157]
	v_fma_f64 v[144:145], v[181:182], v[32:33], -v[191:192]
	ds_load_b128 v[30:33], v158 offset:36288
	v_lshlrev_b32_e32 v187, 4, v149
	v_fma_f64 v[155:156], v[185:186], v[28:29], -v[199:200]
	v_mul_f64_e32 v[42:43], v[92:93], v[42:43]
	v_lshlrev_b32_e32 v188, 4, v150
	s_wait_loadcnt_dscnt 0x705
	v_mul_f64_e32 v[146:147], v[8:9], v[70:71]
	v_fma_f64 v[148:149], v[183:184], v[28:29], v[193:194]
	ds_load_b128 v[26:29], v158 offset:37584
	v_mul_f64_e32 v[70:71], v[6:7], v[70:71]
	s_wait_loadcnt_dscnt 0x604
	v_mul_f64_e32 v[175:176], v[16:17], v[58:59]
	v_mul_f64_e32 v[58:59], v[14:15], v[58:59]
	v_fma_f64 v[150:151], v[151:152], v[24:25], v[201:202]
	v_fma_f64 v[152:153], v[153:154], v[24:25], -v[203:204]
	s_wait_loadcnt 0x5
	v_mul_f64_e32 v[177:178], v[20:21], v[62:63]
	v_mul_f64_e32 v[62:63], v[18:19], v[62:63]
	s_wait_loadcnt_dscnt 0x403
	v_mul_f64_e32 v[179:180], v[12:13], v[74:75]
	v_mul_f64_e32 v[74:75], v[10:11], v[74:75]
	v_lshlrev_b32_e32 v24, 4, v173
	v_lshlrev_b32_e32 v25, 4, v174
	s_wait_loadcnt_dscnt 0x302
	v_mul_f64_e32 v[173:174], v[90:91], v[54:55]
	v_mul_f64_e32 v[54:55], v[88:89], v[54:55]
	s_wait_loadcnt_dscnt 0x201
	v_mul_f64_e32 v[181:182], v[32:33], v[50:51]
	v_mul_f64_e32 v[50:51], v[30:31], v[50:51]
	s_wait_loadcnt 0x1
	v_mul_f64_e32 v[183:184], v[86:87], v[66:67]
	v_mul_f64_e32 v[66:67], v[84:85], v[66:67]
	ds_load_b128 v[34:37], v167
	v_add3_u32 v220, 0, v206, v187
	v_add3_u32 v221, 0, v207, v188
	v_fma_f64 v[92:93], v[92:93], v[40:41], v[22:23]
	s_wait_loadcnt_dscnt 0x1
	v_mul_f64_e32 v[185:186], v[28:29], v[78:79]
	v_add3_u32 v223, 0, v209, v24
	v_add3_u32 v1, 0, v210, v25
	v_mul_f64_e32 v[78:79], v[26:27], v[78:79]
	v_add_f64_e64 v[191:192], v[195:196], -v[108:109]
	v_fma_f64 v[187:188], v[2:3], v[44:45], v[38:39]
	v_fma_f64 v[46:47], v[4:5], v[44:45], -v[46:47]
	ds_load_b128 v[2:5], v168
	ds_load_b128 v[22:25], v115
	v_add_f64_e32 v[189:190], v[134:135], v[144:145]
	v_fma_f64 v[94:95], v[94:95], v[40:41], -v[42:43]
	v_fma_f64 v[146:147], v[6:7], v[68:69], v[146:147]
	s_wait_dscnt 0x2
	v_add_f64_e32 v[193:194], v[36:37], v[134:135]
	v_fma_f64 v[68:69], v[8:9], v[68:69], -v[70:71]
	v_fma_f64 v[70:71], v[14:15], v[56:57], v[175:176]
	v_fma_f64 v[56:57], v[16:17], v[56:57], -v[58:59]
	v_add_f64_e32 v[175:176], v[98:99], v[130:131]
	ds_load_b128 v[6:9], v166
	ds_load_b128 v[38:41], v165
	v_fma_f64 v[58:59], v[18:19], v[60:61], v[177:178]
	v_fma_f64 v[60:61], v[20:21], v[60:61], -v[62:63]
	v_fma_f64 v[62:63], v[10:11], v[72:73], v[179:180]
	v_fma_f64 v[72:73], v[12:13], v[72:73], -v[74:75]
	v_add_f64_e32 v[74:75], v[96:97], v[128:129]
	v_add_f64_e32 v[177:178], v[80:81], v[96:97]
	v_fma_f64 v[88:89], v[88:89], v[52:53], v[173:174]
	v_add_f64_e32 v[173:174], v[82:83], v[98:99]
	v_fma_f64 v[52:53], v[90:91], v[52:53], -v[54:55]
	v_fma_f64 v[54:55], v[30:31], v[48:49], v[181:182]
	v_add_f64_e32 v[30:31], v[195:196], v[108:109]
	v_add_f64_e32 v[90:91], v[197:198], v[110:111]
	v_fma_f64 v[48:49], v[32:33], v[48:49], -v[50:51]
	v_fma_f64 v[50:51], v[84:85], v[64:65], v[183:184]
	s_wait_dscnt 0x3
	v_add_f64_e32 v[32:33], v[4:5], v[197:198]
	v_add_f64_e32 v[84:85], v[2:3], v[195:196]
	v_fma_f64 v[64:65], v[86:87], v[64:65], -v[66:67]
	v_add_f64_e32 v[66:67], v[104:105], v[100:101]
	s_wait_dscnt 0x2
	v_add_f64_e32 v[181:182], v[22:23], v[104:105]
	v_fma_f64 v[179:180], v[26:27], v[76:77], v[185:186]
	v_fma_f64 v[76:77], v[28:29], v[76:77], -v[78:79]
	v_add_f64_e64 v[185:186], v[197:198], -v[110:111]
	v_add_f64_e32 v[195:196], v[34:35], v[132:133]
	v_add_f64_e32 v[197:198], v[148:149], v[150:151]
	;; [unrolled: 1-line block ×3, first 2 shown]
	ds_load_b128 v[14:17], v164
	ds_load_b128 v[42:45], v163
	;; [unrolled: 1-line block ×4, first 2 shown]
	v_add_f64_e32 v[86:87], v[106:107], v[102:103]
	v_add_f64_e64 v[78:79], v[98:99], -v[130:131]
	v_add_f64_e32 v[98:99], v[24:25], v[106:107]
	v_add_f64_e64 v[183:184], v[96:97], -v[128:129]
	v_add_f64_e32 v[96:97], v[132:133], v[142:143]
	s_wait_dscnt 0x5
	v_add_f64_e32 v[201:202], v[8:9], v[155:156]
	v_add_f64_e32 v[203:204], v[6:7], v[148:149]
	v_add_f64_e64 v[154:155], v[155:156], -v[152:153]
	v_add_f64_e32 v[156:157], v[94:95], v[46:47]
	v_add_f64_e64 v[132:133], v[132:133], -v[142:143]
	v_add_f64_e64 v[134:135], v[134:135], -v[144:145]
	;; [unrolled: 1-line block ×5, first 2 shown]
	v_add_f64_e32 v[205:206], v[60:61], v[72:73]
	v_fma_f64 v[74:75], v[74:75], -0.5, v[80:81]
	v_fma_f64 v[80:81], v[175:176], -0.5, v[82:83]
	v_add_f64_e32 v[26:27], v[177:178], v[128:129]
	v_add_f64_e32 v[28:29], v[173:174], v[130:131]
	s_wait_dscnt 0x4
	v_add_f64_e32 v[128:129], v[40:41], v[94:95]
	v_add_f64_e32 v[130:131], v[38:39], v[92:93]
	v_fma_f64 v[173:174], v[30:31], -0.5, v[2:3]
	v_fma_f64 v[90:91], v[90:91], -0.5, v[4:5]
	v_add_f64_e32 v[175:176], v[146:147], v[70:71]
	v_add_f64_e32 v[177:178], v[68:69], v[56:57]
	;; [unrolled: 1-line block ×4, first 2 shown]
	s_wait_dscnt 0x3
	v_add_f64_e32 v[108:109], v[14:15], v[146:147]
	v_fma_f64 v[66:67], v[66:67], -0.5, v[22:23]
	v_add_f64_e32 v[110:111], v[58:59], v[62:63]
	v_add_f64_e32 v[22:23], v[181:182], v[100:101]
	v_fma_f64 v[181:182], v[189:190], -0.5, v[36:37]
	v_add_f64_e32 v[189:190], v[88:89], v[54:55]
	v_add_f64_e32 v[207:208], v[52:53], v[48:49]
	v_add_f64_e32 v[82:83], v[92:93], v[187:188]
	v_add_f64_e32 v[32:33], v[193:194], v[144:145]
	v_add_f64_e32 v[30:31], v[195:196], v[142:143]
	s_wait_dscnt 0x1
	v_add_f64_e32 v[142:143], v[12:13], v[52:53]
	v_fma_f64 v[193:194], v[197:198], -0.5, v[6:7]
	v_fma_f64 v[195:196], v[199:200], -0.5, v[8:9]
	v_add_f64_e32 v[197:198], v[50:51], v[179:180]
	v_add_f64_e32 v[199:200], v[64:65], v[76:77]
	;; [unrolled: 1-line block ×4, first 2 shown]
	v_fma_f64 v[86:87], v[86:87], -0.5, v[24:25]
	v_add_f64_e32 v[24:25], v[98:99], v[102:103]
	v_add_f64_e32 v[98:99], v[44:45], v[60:61]
	;; [unrolled: 1-line block ×3, first 2 shown]
	v_fma_f64 v[102:103], v[96:97], -0.5, v[34:35]
	v_add_f64_e32 v[8:9], v[201:202], v[152:153]
	v_add_f64_e32 v[6:7], v[203:204], v[150:151]
	v_add_f64_e64 v[150:151], v[60:61], -v[72:73]
	v_add_f64_e64 v[201:202], v[58:59], -v[62:63]
	;; [unrolled: 1-line block ×6, first 2 shown]
	v_add_f64_e32 v[36:37], v[128:129], v[46:47]
	v_add_f64_e32 v[34:35], v[130:131], v[187:188]
	v_add_f64_e64 v[140:141], v[68:69], -v[56:57]
	v_add_f64_e64 v[146:147], v[146:147], -v[70:71]
	v_fma_f64 v[128:129], v[175:176], -0.5, v[14:15]
	v_fma_f64 v[130:131], v[177:178], -0.5, v[16:17]
	;; [unrolled: 1-line block ×3, first 2 shown]
	s_wait_dscnt 0x0
	v_add_f64_e32 v[152:153], v[20:21], v[64:65]
	v_add_f64_e32 v[14:15], v[108:109], v[70:71]
	;; [unrolled: 1-line block ×3, first 2 shown]
	v_fma_f64 v[108:109], v[110:111], -0.5, v[42:43]
	v_fma_f64 v[110:111], v[205:206], -0.5, v[44:45]
	v_add_f64_e64 v[213:214], v[64:65], -v[76:77]
	v_fma_f64 v[175:176], v[189:190], -0.5, v[10:11]
	v_fma_f64 v[177:178], v[207:208], -0.5, v[12:13]
	;; [unrolled: 1-line block ×3, first 2 shown]
	v_add_f64_e64 v[215:216], v[50:51], -v[179:180]
	v_fma_f64 v[42:43], v[78:79], s[4:5], v[74:75]
	v_add_f64_e32 v[12:13], v[142:143], v[48:49]
	v_fma_f64 v[44:45], v[183:184], s[10:11], v[80:81]
	v_fma_f64 v[46:47], v[78:79], s[10:11], v[74:75]
	v_fma_f64 v[142:143], v[197:198], -0.5, v[18:19]
	v_fma_f64 v[187:188], v[199:200], -0.5, v[20:21]
	v_fma_f64 v[48:49], v[183:184], s[4:5], v[80:81]
	v_fma_f64 v[50:51], v[185:186], s[4:5], v[173:174]
	v_fma_f64 v[52:53], v[191:192], s[10:11], v[90:91]
	v_add_f64_e32 v[16:17], v[84:85], v[56:57]
	v_add_f64_e32 v[10:11], v[144:145], v[54:55]
	v_fma_f64 v[54:55], v[185:186], s[10:11], v[173:174]
	v_fma_f64 v[56:57], v[191:192], s[4:5], v[90:91]
	v_add_f64_e32 v[40:41], v[98:99], v[72:73]
	v_add_f64_e32 v[38:39], v[100:101], v[62:63]
	v_fma_f64 v[58:59], v[106:107], s[4:5], v[66:67]
	v_fma_f64 v[62:63], v[106:107], s[10:11], v[66:67]
	;; [unrolled: 1-line block ×14, first 2 shown]
	v_add_f64_e32 v[20:21], v[152:153], v[76:77]
	v_fma_f64 v[76:77], v[148:149], s[10:11], v[195:196]
	v_fma_f64 v[101:102], v[150:151], s[4:5], v[108:109]
	;; [unrolled: 1-line block ×14, first 2 shown]
	v_add_f64_e32 v[18:19], v[211:212], v[179:180]
	v_fma_f64 v[140:141], v[213:214], s[4:5], v[142:143]
	v_fma_f64 v[144:145], v[213:214], s[10:11], v[142:143]
	;; [unrolled: 1-line block ×4, first 2 shown]
	v_lshlrev_b32_e32 v96, 1, v112
	global_wb scope:SCOPE_SE
	s_barrier_signal -1
	s_barrier_wait -1
	global_inv scope:SCOPE_SE
	ds_store_b128 v0, v[26:29]
	ds_store_b128 v0, v[42:45] offset:480
	ds_store_b128 v0, v[46:49] offset:960
	ds_store_b128 v217, v[2:5]
	ds_store_b128 v217, v[50:53] offset:480
	ds_store_b128 v217, v[54:57] offset:960
	;; [unrolled: 3-line block ×7, first 2 shown]
	ds_store_b128 v223, v[38:41]
	ds_store_b128 v223, v[101:104] offset:480
	v_mov_b32_e32 v97, 0
	v_add3_u32 v0, 0, v224, v225
	ds_store_b128 v223, v[105:108] offset:960
	v_lshlrev_b64_e32 v[2:3], 4, v[96:97]
	ds_store_b128 v1, v[10:13]
	ds_store_b128 v1, v[128:131] offset:480
	ds_store_b128 v1, v[132:135] offset:960
	v_add_nc_u32_e32 v1, -9, v112
	ds_store_b128 v0, v[18:21]
	ds_store_b128 v0, v[140:143] offset:480
	ds_store_b128 v0, v[144:147] offset:960
	s_wait_alu 0xf1ff
	v_cndmask_b32_e64 v173, v1, v114, s0
	v_add_co_u32 v98, s0, s8, v2
	v_mul_lo_u16 v2, 0xb7, v137
	s_delay_alu instid0(VALU_DEP_3) | instskip(SKIP_2) | instid1(VALU_DEP_3)
	v_dual_mov_b32 v1, v97 :: v_dual_lshlrev_b32 v0, 1, v173
	s_wait_alu 0xf1ff
	v_add_co_ci_u32_e64 v99, s0, s9, v3, s0
	v_lshrrev_b16 v175, 14, v2
	v_mul_u32_u24_e32 v3, 0x2d83, v136
	v_lshlrev_b64_e32 v[0:1], 4, v[0:1]
	global_wb scope:SCOPE_SE
	s_wait_dscnt 0x0
	s_barrier_signal -1
	v_mul_lo_u16 v2, 0x5a, v175
	v_lshrrev_b32_e32 v178, 20, v3
	s_barrier_wait -1
	v_add_co_u32 v0, s0, s8, v0
	s_delay_alu instid0(VALU_DEP_3)
	v_sub_nc_u16 v2, v127, v2
	s_wait_alu 0xf1ff
	v_add_co_ci_u32_e64 v1, s0, s9, v1, s0
	v_mul_lo_u16 v3, 0x5a, v178
	global_inv scope:SCOPE_SE
	v_and_b32_e32 v179, 0xff, v2
	s_clause 0x3
	global_load_b128 v[56:59], v[98:99], off offset:1280
	global_load_b128 v[60:63], v[98:99], off offset:1296
	;; [unrolled: 1-line block ×4, first 2 shown]
	v_mul_u32_u24_e32 v12, 0x2d83, v170
	v_lshlrev_b32_e32 v2, 5, v179
	v_cmp_lt_u32_e64 s0, 8, v112
	s_delay_alu instid0(VALU_DEP_3)
	v_lshrrev_b32_e32 v184, 20, v12
	global_load_b128 v[88:91], v2, s[8:9] offset:1296
	v_sub_nc_u16 v1, v126, v3
	v_mul_u32_u24_e32 v0, 0x2d83, v138
	global_load_b128 v[84:87], v2, s[8:9] offset:1280
	v_mul_u32_u24_e32 v12, 0x2d83, v171
	v_mul_u32_u24_e32 v225, 0x10e0, v184
	v_and_b32_e32 v182, 0xffff, v1
	v_lshrrev_b32_e32 v174, 20, v0
	s_delay_alu instid0(VALU_DEP_4) | instskip(NEXT) | instid1(VALU_DEP_3)
	v_lshrrev_b32_e32 v185, 20, v12
	v_lshlrev_b32_e32 v1, 5, v182
	s_delay_alu instid0(VALU_DEP_3) | instskip(NEXT) | instid1(VALU_DEP_3)
	v_mul_lo_u16 v0, 0x5a, v174
	v_mul_lo_u16 v18, 0x5a, v185
	v_mul_u32_u24_e32 v226, 0x10e0, v185
	global_load_b128 v[189:192], v1, s[8:9] offset:1296
	v_mul_u32_u24_e32 v2, 0x2d83, v139
	v_sub_nc_u16 v0, v125, v0
	global_load_b128 v[134:137], v1, s[8:9] offset:1280
	v_sub_nc_u16 v18, v121, v18
	v_lshrrev_b32_e32 v177, 20, v2
	v_and_b32_e32 v176, 0xffff, v0
	v_mul_u32_u24_e32 v2, 0x2d83, v169
	s_delay_alu instid0(VALU_DEP_4) | instskip(NEXT) | instid1(VALU_DEP_4)
	v_and_b32_e32 v187, 0xffff, v18
	v_mul_lo_u16 v0, 0x5a, v177
	s_delay_alu instid0(VALU_DEP_3) | instskip(NEXT) | instid1(VALU_DEP_3)
	v_lshrrev_b32_e32 v181, 20, v2
	v_lshlrev_b32_e32 v230, 4, v187
	s_delay_alu instid0(VALU_DEP_3) | instskip(NEXT) | instid1(VALU_DEP_1)
	v_sub_nc_u16 v0, v124, v0
	v_and_b32_e32 v180, 0xffff, v0
	s_delay_alu instid0(VALU_DEP_1)
	v_lshlrev_b32_e32 v0, 5, v180
	v_lshlrev_b32_e32 v227, 4, v180
	global_load_b128 v[4:7], v0, s[8:9] offset:1280
	v_lshlrev_b32_e32 v1, 5, v176
	s_clause 0x1
	global_load_b128 v[28:31], v1, s[8:9] offset:1280
	global_load_b128 v[8:11], v1, s[8:9] offset:1296
	v_mul_lo_u16 v1, 0x5a, v181
	s_delay_alu instid0(VALU_DEP_1) | instskip(SKIP_3) | instid1(VALU_DEP_2)
	v_sub_nc_u16 v13, v123, v1
	global_load_b128 v[0:3], v0, s[8:9] offset:1296
	v_and_b32_e32 v183, 0xffff, v13
	v_mul_lo_u16 v13, 0x5a, v184
	v_lshlrev_b32_e32 v16, 5, v183
	s_delay_alu instid0(VALU_DEP_2)
	v_sub_nc_u16 v17, v122, v13
	v_lshlrev_b32_e32 v228, 4, v183
	global_load_b128 v[12:15], v16, s[8:9] offset:1280
	v_and_b32_e32 v186, 0xffff, v17
	v_mul_u32_u24_e32 v17, 0x2d83, v172
	global_load_b128 v[40:43], v16, s[8:9] offset:1296
	v_lshlrev_b32_e32 v19, 5, v186
	v_lshrrev_b32_e32 v17, 20, v17
	v_lshlrev_b32_e32 v229, 4, v186
	global_load_b128 v[36:39], v19, s[8:9] offset:1280
	v_mul_lo_u16 v16, 0x5a, v17
	v_lshlrev_b32_e32 v17, 5, v187
	global_load_b128 v[32:35], v19, s[8:9] offset:1296
	v_sub_nc_u16 v16, v120, v16
	global_load_b128 v[20:23], v17, s[8:9] offset:1280
	v_and_b32_e32 v188, 0xffff, v16
	global_load_b128 v[16:19], v17, s[8:9] offset:1296
	v_lshlrev_b32_e32 v44, 5, v188
	s_clause 0x1
	global_load_b128 v[24:27], v44, s[8:9] offset:1280
	global_load_b128 v[44:47], v44, s[8:9] offset:1296
	ds_load_b128 v[64:67], v158 offset:12960
	ds_load_b128 v[100:103], v158 offset:25920
	;; [unrolled: 1-line block ×4, first 2 shown]
	ds_load_b128 v[48:51], v158
	ds_load_b128 v[52:55], v158 offset:24624
	ds_load_b128 v[146:149], v158 offset:15552
	;; [unrolled: 1-line block ×7, first 2 shown]
	v_lshl_add_u32 v188, v188, 4, 0
	s_wait_loadcnt_dscnt 0x130b
	v_mul_f64_e32 v[72:73], v[66:67], v[58:59]
	v_mul_f64_e32 v[58:59], v[64:65], v[58:59]
	s_wait_loadcnt_dscnt 0x120a
	v_mul_f64_e32 v[132:133], v[102:103], v[62:63]
	v_mul_f64_e32 v[62:63], v[100:101], v[62:63]
	s_wait_loadcnt_dscnt 0x1109
	v_mul_f64_e32 v[138:139], v[110:111], v[78:79]
	s_wait_loadcnt_dscnt 0x1008
	v_mul_f64_e32 v[142:143], v[130:131], v[82:83]
	v_mul_f64_e32 v[82:83], v[128:129], v[82:83]
	;; [unrolled: 1-line block ×3, first 2 shown]
	s_wait_loadcnt_dscnt 0xf04
	v_mul_f64_e32 v[205:206], v[195:196], v[90:91]
	v_mul_f64_e32 v[90:91], v[193:194], v[90:91]
	s_wait_loadcnt 0xe
	v_mul_f64_e32 v[150:151], v[148:149], v[86:87]
	v_mul_f64_e32 v[86:87], v[146:147], v[86:87]
	s_wait_loadcnt_dscnt 0xd03
	v_mul_f64_e32 v[211:212], v[203:204], v[191:192]
	v_mul_f64_e32 v[191:192], v[201:202], v[191:192]
	s_wait_loadcnt_dscnt 0xc01
	v_mul_f64_e32 v[207:208], v[199:200], v[136:137]
	v_mul_f64_e32 v[209:210], v[197:198], v[136:137]
	v_fma_f64 v[104:105], v[64:65], v[56:57], v[72:73]
	v_fma_f64 v[106:107], v[66:67], v[56:57], -v[58:59]
	ds_load_b128 v[72:75], v158 offset:19440
	ds_load_b128 v[56:59], v158 offset:20736
	;; [unrolled: 1-line block ×3, first 2 shown]
	v_fma_f64 v[100:101], v[100:101], v[60:61], v[132:133]
	v_fma_f64 v[102:103], v[102:103], v[60:61], -v[62:63]
	ds_load_b128 v[60:63], v167
	v_fma_f64 v[108:109], v[108:109], v[76:77], v[138:139]
	v_fma_f64 v[110:111], v[110:111], v[76:77], -v[78:79]
	v_fma_f64 v[136:137], v[195:196], v[88:89], -v[90:91]
	v_mov_b32_e32 v195, v97
	s_wait_loadcnt_dscnt 0xb03
	v_mul_f64_e32 v[144:145], v[72:73], v[6:7]
	s_wait_loadcnt 0xa
	v_mul_f64_e32 v[156:157], v[92:93], v[30:31]
	s_wait_loadcnt 0x9
	v_mul_f64_e32 v[138:139], v[70:71], v[10:11]
	v_mul_f64_e32 v[140:141], v[68:69], v[10:11]
	v_fma_f64 v[10:11], v[128:129], v[80:81], v[142:143]
	v_mul_f64_e32 v[142:143], v[74:75], v[6:7]
	v_fma_f64 v[6:7], v[146:147], v[84:85], v[150:151]
	v_mul_f64_e32 v[154:155], v[94:95], v[30:31]
	v_fma_f64 v[30:31], v[130:131], v[80:81], -v[82:83]
	s_wait_loadcnt_dscnt 0x801
	v_mul_f64_e32 v[150:151], v[66:67], v[2:3]
	v_mul_f64_e32 v[152:153], v[64:65], v[2:3]
	v_fma_f64 v[128:129], v[148:149], v[84:85], -v[86:87]
	v_fma_f64 v[130:131], v[193:194], v[88:89], v[205:206]
	ds_load_b128 v[88:91], v158 offset:33696
	ds_load_b128 v[80:83], v158 offset:22032
	v_fma_f64 v[2:3], v[201:202], v[189:190], v[211:212]
	ds_load_b128 v[76:79], v158 offset:34992
	ds_load_b128 v[84:87], v158 offset:23328
	v_fma_f64 v[132:133], v[197:198], v[134:135], v[207:208]
	v_fma_f64 v[134:135], v[199:200], v[134:135], -v[209:210]
	v_lshlrev_b32_e32 v194, 1, v114
	s_wait_loadcnt 0x7
	v_mul_f64_e32 v[146:147], v[58:59], v[14:15]
	v_mul_f64_e32 v[148:149], v[56:57], v[14:15]
	v_fma_f64 v[14:15], v[203:204], v[189:190], -v[191:192]
	ds_load_b128 v[190:193], v158 offset:36288
	s_wait_alu 0xf1ff
	v_cndmask_b32_e64 v189, 0, 0x10e0, s0
	v_cmp_gt_u32_e64 s0, 27, v112
	s_wait_loadcnt_dscnt 0x503
	v_mul_f64_e32 v[196:197], v[82:83], v[38:39]
	v_fma_f64 v[94:95], v[94:95], v[28:29], -v[156:157]
	v_mul_f64_e32 v[156:157], v[90:91], v[42:43]
	v_mul_f64_e32 v[42:43], v[88:89], v[42:43]
	v_fma_f64 v[68:69], v[68:69], v[8:9], v[138:139]
	v_fma_f64 v[8:9], v[70:71], v[8:9], -v[140:141]
	v_fma_f64 v[142:143], v[72:73], v[4:5], v[142:143]
	v_fma_f64 v[4:5], v[74:75], v[4:5], -v[144:145]
	ds_load_b128 v[71:74], v158 offset:37584
	v_fma_f64 v[64:65], v[64:65], v[0:1], v[150:151]
	v_fma_f64 v[0:1], v[66:67], v[0:1], -v[152:153]
	s_wait_loadcnt_dscnt 0x201
	v_mul_f64_e32 v[66:67], v[192:193], v[18:19]
	v_mul_f64_e32 v[18:19], v[190:191], v[18:19]
	v_fma_f64 v[92:93], v[92:93], v[28:29], v[154:155]
	v_subrev_nc_u32_e32 v28, 27, v112
	v_mul_f64_e32 v[138:139], v[80:81], v[38:39]
	v_lshlrev_b32_e32 v39, 4, v179
	s_wait_loadcnt 0x1
	v_mul_f64_e32 v[151:152], v[54:55], v[26:27]
	v_mul_u32_u24_e32 v75, 0x10e0, v178
	s_wait_alu 0xf1ff
	v_cndmask_b32_e64 v70, v28, v126, s0
	v_and_b32_e32 v28, 0xffff, v175
	v_add_f64_e32 v[206:207], v[60:61], v[132:133]
	v_add_f64_e32 v[204:205], v[62:63], v[134:135]
	v_fma_f64 v[56:57], v[56:57], v[12:13], v[146:147]
	v_fma_f64 v[58:59], v[58:59], v[12:13], -v[148:149]
	v_mul_u32_u24_e32 v38, 0x10e0, v28
	v_mul_f64_e32 v[12:13], v[52:53], v[26:27]
	v_lshlrev_b32_e32 v26, 4, v173
	s_wait_loadcnt_dscnt 0x0
	v_mul_f64_e32 v[146:147], v[73:74], v[46:47]
	v_mul_f64_e32 v[46:47], v[71:72], v[46:47]
	v_add3_u32 v223, 0, v38, v39
	v_lshlrev_b32_e32 v148, 4, v182
	v_add3_u32 v222, 0, v189, v26
	ds_load_b128 v[26:29], v168
	v_fma_f64 v[80:81], v[80:81], v[36:37], v[196:197]
	v_add_f64_e32 v[196:197], v[128:129], v[136:137]
	v_add3_u32 v224, 0, v75, v148
	v_add_f64_e32 v[148:149], v[110:111], v[30:31]
	v_dual_mov_b32 v155, v97 :: v_dual_lshlrev_b32 v154, 1, v127
	v_fma_f64 v[88:89], v[88:89], v[40:41], v[156:157]
	v_fma_f64 v[90:91], v[90:91], v[40:41], -v[42:43]
	ds_load_b128 v[38:41], v115
	v_mul_f64_e32 v[140:141], v[78:79], v[34:35]
	v_mul_f64_e32 v[34:35], v[76:77], v[34:35]
	v_add_f64_e32 v[42:43], v[106:107], v[102:103]
	v_add_f64_e32 v[210:211], v[94:95], v[8:9]
	;; [unrolled: 1-line block ×3, first 2 shown]
	v_lshlrev_b64_e32 v[153:154], 4, v[154:155]
	v_fma_f64 v[66:67], v[190:191], v[16:17], v[66:67]
	v_fma_f64 v[156:157], v[192:193], v[16:17], -v[18:19]
	ds_load_b128 v[16:19], v166
	v_mul_f64_e32 v[144:145], v[86:87], v[22:23]
	v_mul_f64_e32 v[22:23], v[84:85], v[22:23]
	v_fma_f64 v[82:83], v[82:83], v[36:37], -v[138:139]
	v_add_f64_e32 v[36:37], v[104:105], v[100:101]
	v_add_f64_e32 v[191:192], v[6:7], v[130:131]
	;; [unrolled: 1-line block ×4, first 2 shown]
	v_fma_f64 v[151:152], v[52:53], v[24:25], v[151:152]
	v_mov_b32_e32 v150, v97
	s_wait_dscnt 0x1
	v_add_f64_e32 v[198:199], v[40:41], v[128:129]
	v_add_f64_e32 v[200:201], v[38:39], v[6:7]
	v_fma_f64 v[202:203], v[54:55], v[24:25], -v[12:13]
	v_add_f64_e64 v[128:129], v[128:129], -v[136:137]
	v_fma_f64 v[71:72], v[71:72], v[44:45], v[146:147]
	v_add_f64_e32 v[146:147], v[134:135], v[14:15]
	v_fma_f64 v[46:47], v[73:74], v[44:45], -v[46:47]
	v_add_f64_e64 v[73:74], v[106:107], -v[102:103]
	v_add_f64_e32 v[106:107], v[132:133], v[2:3]
	s_wait_dscnt 0x0
	v_add_f64_e32 v[212:213], v[18:19], v[94:95]
	v_add_f64_e64 v[94:95], v[94:95], -v[8:9]
	v_fma_f64 v[40:41], v[196:197], -0.5, v[40:41]
	v_add_f64_e64 v[134:135], v[134:135], -v[14:15]
	v_add_f64_e64 v[132:133], v[132:133], -v[2:3]
	v_add_f64_e32 v[2:3], v[206:207], v[2:3]
	v_fma_f64 v[75:76], v[76:77], v[32:33], v[140:141]
	v_add_f64_e32 v[140:141], v[48:49], v[104:105]
	v_fma_f64 v[77:78], v[78:79], v[32:33], -v[34:35]
	v_fma_f64 v[214:215], v[42:43], -0.5, v[50:51]
	v_add_f64_e32 v[50:51], v[16:17], v[92:93]
	v_add_f64_e64 v[104:105], v[104:105], -v[100:101]
	v_add_f64_e64 v[92:93], v[92:93], -v[68:69]
	v_fma_f64 v[84:85], v[84:85], v[20:21], v[144:145]
	v_fma_f64 v[86:87], v[86:87], v[20:21], -v[22:23]
	ds_load_b128 v[20:23], v165
	v_add_f64_e32 v[178:179], v[28:29], v[110:111]
	v_add_f64_e32 v[189:190], v[26:27], v[108:109]
	;; [unrolled: 1-line block ×3, first 2 shown]
	ds_load_b128 v[32:35], v164
	ds_load_b128 v[52:55], v163
	v_add_f64_e64 v[110:111], v[110:111], -v[30:31]
	v_add_f64_e64 v[108:109], v[108:109], -v[10:11]
	v_fma_f64 v[48:49], v[36:37], -0.5, v[48:49]
	v_add_f64_e32 v[44:45], v[138:139], v[102:103]
	v_add_f64_e32 v[24:25], v[200:201], v[130:131]
	v_add_f64_e64 v[130:131], v[6:7], -v[130:131]
	v_fma_f64 v[200:201], v[208:209], -0.5, v[16:17]
	v_fma_f64 v[146:147], v[146:147], -0.5, v[62:63]
	v_add_f64_e32 v[218:219], v[202:203], v[46:47]
	v_add_f64_e64 v[186:187], v[202:203], -v[46:47]
	v_fma_f64 v[106:107], v[106:107], -0.5, v[60:61]
	v_add_f64_e32 v[8:9], v[212:213], v[8:9]
	v_add_f64_e32 v[212:213], v[151:152], v[71:72]
	s_wait_dscnt 0x2
	v_add_f64_e32 v[102:103], v[22:23], v[4:5]
	s_wait_dscnt 0x1
	;; [unrolled: 2-line block ×3, first 2 shown]
	v_add_f64_e32 v[206:207], v[52:53], v[80:81]
	v_add_f64_e32 v[62:63], v[80:81], v[75:76]
	;; [unrolled: 1-line block ×4, first 2 shown]
	v_fma_f64 v[140:141], v[148:149], -0.5, v[28:29]
	v_add_f64_e32 v[148:149], v[58:59], v[90:91]
	v_add_f64_e32 v[196:197], v[82:83], v[77:78]
	v_add_f64_e32 v[6:7], v[50:51], v[68:69]
	v_add_f64_e32 v[208:209], v[84:85], v[66:67]
	v_add_f64_e32 v[50:51], v[86:87], v[156:157]
	v_add_f64_e64 v[182:183], v[86:87], -v[156:157]
	v_add_f64_e32 v[12:13], v[178:179], v[30:31]
	v_add_f64_e32 v[10:11], v[189:190], v[10:11]
	v_fma_f64 v[189:190], v[191:192], -0.5, v[38:39]
	ds_load_b128 v[28:31], v162
	ds_load_b128 v[36:39], v161
	v_fma_f64 v[138:139], v[144:145], -0.5, v[26:27]
	v_add_f64_e32 v[144:145], v[56:57], v[88:89]
	v_add_f64_e32 v[178:179], v[20:21], v[142:143]
	;; [unrolled: 1-line block ×5, first 2 shown]
	v_add_f64_e64 v[136:137], v[4:5], -v[0:1]
	v_add_f64_e32 v[4:5], v[204:205], v[14:15]
	v_fma_f64 v[204:205], v[210:211], -0.5, v[18:19]
	v_fma_f64 v[210:211], v[216:217], -0.5, v[20:21]
	v_mul_u32_u24_e32 v18, 0x10e0, v174
	v_add_f64_e64 v[173:174], v[56:57], -v[88:89]
	v_lshlrev_b32_e32 v19, 4, v176
	v_add_f64_e64 v[175:176], v[82:83], -v[77:78]
	v_add_f64_e64 v[184:185], v[84:85], -v[66:67]
	v_add_f64_e32 v[16:17], v[102:103], v[0:1]
	v_add_f64_e64 v[102:103], v[142:143], -v[64:65]
	v_add_f64_e64 v[142:143], v[58:59], -v[90:91]
	s_wait_dscnt 0x1
	v_add_f64_e32 v[68:69], v[30:31], v[86:87]
	s_wait_dscnt 0x0
	v_add_f64_e32 v[220:221], v[38:39], v[202:203]
	v_add_f64_e32 v[0:1], v[36:37], v[151:152]
	v_add_f64_e64 v[151:152], v[151:152], -v[71:72]
	v_fma_f64 v[202:203], v[218:219], -0.5, v[38:39]
	v_add3_u32 v231, 0, v18, v19
	v_fma_f64 v[22:23], v[100:101], -0.5, v[22:23]
	v_add_f64_e32 v[100:101], v[28:29], v[84:85]
	v_fma_f64 v[216:217], v[148:149], -0.5, v[34:35]
	v_mul_u32_u24_e32 v148, 0x10e0, v177
	v_mul_u32_u24_e32 v177, 0x10e0, v181
	v_add_f64_e64 v[180:181], v[80:81], -v[75:76]
	v_fma_f64 v[56:57], v[108:109], s[10:11], v[140:141]
	v_add_f64_e32 v[18:19], v[60:61], v[88:89]
	v_fma_f64 v[60:61], v[108:109], s[4:5], v[140:141]
	v_fma_f64 v[79:80], v[94:95], s[4:5], v[200:201]
	;; [unrolled: 1-line block ×3, first 2 shown]
	v_lshlrev_b32_e32 v149, 1, v70
	global_wb scope:SCOPE_SE
	s_barrier_signal -1
	v_fma_f64 v[58:59], v[110:111], s[10:11], v[138:139]
	v_fma_f64 v[144:145], v[144:145], -0.5, v[32:33]
	v_add_f64_e32 v[14:15], v[178:179], v[64:65]
	v_lshlrev_b64_e32 v[178:179], 4, v[194:195]
	v_add_f64_e32 v[20:21], v[191:192], v[90:91]
	v_fma_f64 v[191:192], v[62:63], -0.5, v[52:53]
	v_fma_f64 v[193:194], v[196:197], -0.5, v[54:55]
	v_add_f64_e32 v[34:35], v[198:199], v[77:78]
	v_fma_f64 v[195:196], v[208:209], -0.5, v[28:29]
	v_fma_f64 v[197:198], v[50:51], -0.5, v[30:31]
	v_fma_f64 v[50:51], v[73:74], s[10:11], v[48:49]
	v_fma_f64 v[52:53], v[104:105], s[4:5], v[214:215]
	v_fma_f64 v[54:55], v[110:111], s[4:5], v[138:139]
	v_fma_f64 v[62:63], v[128:129], s[4:5], v[189:190]
	v_fma_f64 v[64:65], v[130:131], s[10:11], v[40:41]
	v_add_f64_e32 v[32:33], v[206:207], v[75:76]
	v_fma_f64 v[75:76], v[134:135], s[10:11], v[106:107]
	v_fma_f64 v[77:78], v[132:133], s[4:5], v[146:147]
	v_add_f64_e32 v[30:31], v[68:69], v[156:157]
	v_fma_f64 v[155:156], v[212:213], -0.5, v[36:37]
	v_add_f64_e32 v[38:39], v[220:221], v[46:47]
	v_fma_f64 v[46:47], v[73:74], s[4:5], v[48:49]
	v_fma_f64 v[48:49], v[104:105], s[10:11], v[214:215]
	;; [unrolled: 1-line block ×3, first 2 shown]
	v_add_f64_e32 v[36:37], v[0:1], v[71:72]
	v_add_f64_e32 v[28:29], v[100:101], v[66:67]
	v_fma_f64 v[66:67], v[128:129], s[10:11], v[189:190]
	v_fma_f64 v[71:72], v[134:135], s[4:5], v[106:107]
	v_fma_f64 v[73:74], v[132:133], s[10:11], v[146:147]
	v_fma_f64 v[81:82], v[92:93], s[10:11], v[204:205]
	v_fma_f64 v[85:86], v[92:93], s[4:5], v[204:205]
	v_fma_f64 v[87:88], v[136:137], s[4:5], v[210:211]
	v_fma_f64 v[89:90], v[102:103], s[10:11], v[22:23]
	v_fma_f64 v[91:92], v[136:137], s[10:11], v[210:211]
	v_fma_f64 v[93:94], v[102:103], s[4:5], v[22:23]
	v_fma_f64 v[102:103], v[173:174], s[10:11], v[216:217]
	v_fma_f64 v[106:107], v[173:174], s[4:5], v[216:217]
	v_fma_f64 v[146:147], v[151:152], s[4:5], v[202:203]
	v_add3_u32 v0, 0, v148, v227
	v_fma_f64 v[100:101], v[142:143], s[4:5], v[144:145]
	v_fma_f64 v[104:105], v[142:143], s[10:11], v[144:145]
	;; [unrolled: 1-line block ×3, first 2 shown]
	v_add3_u32 v1, 0, v177, v228
	v_fma_f64 v[108:109], v[175:176], s[4:5], v[191:192]
	v_fma_f64 v[110:111], v[180:181], s[10:11], v[193:194]
	;; [unrolled: 1-line block ×8, first 2 shown]
	v_add3_u32 v22, 0, v225, v229
	v_add3_u32 v23, 0, v226, v230
	s_barrier_wait -1
	global_inv scope:SCOPE_SE
	v_lshlrev_b32_e32 v70, 4, v70
	v_fma_f64 v[140:141], v[186:187], s[4:5], v[155:156]
	v_fma_f64 v[144:145], v[186:187], s[10:11], v[155:156]
	ds_store_b128 v158, v[42:45]
	ds_store_b128 v158, v[46:49] offset:1440
	ds_store_b128 v158, v[50:53] offset:2880
	ds_store_b128 v222, v[10:13]
	ds_store_b128 v222, v[54:57] offset:1440
	ds_store_b128 v222, v[58:61] offset:2880
	;; [unrolled: 3-line block ×9, first 2 shown]
	ds_store_b128 v188, v[36:39] offset:34560
	ds_store_b128 v188, v[140:143] offset:36000
	;; [unrolled: 1-line block ×3, first 2 shown]
	v_dual_mov_b32 v3, v97 :: v_dual_add_nc_u32 v2, 0x6c, v96
	global_wb scope:SCOPE_SE
	s_wait_dscnt 0x0
	s_barrier_signal -1
	s_barrier_wait -1
	global_inv scope:SCOPE_SE
	global_load_b128 v[52:55], v[98:99], off offset:4160
	v_add_co_u32 v68, s0, s8, v178
	v_lshlrev_b64_e32 v[0:1], 4, v[149:150]
	s_wait_alu 0xf1ff
	v_add_co_ci_u32_e64 v69, s0, s9, v179, s0
	global_load_b128 v[40:43], v[98:99], off offset:4176
	v_mul_u32_u24_e32 v4, 0x795d, v169
	v_add_co_u32 v66, s0, s8, v153
	global_load_b128 v[44:47], v[68:69], off offset:4176
	v_lshlrev_b64_e32 v[2:3], 4, v[2:3]
	s_wait_alu 0xf1ff
	v_add_co_ci_u32_e64 v67, s0, s9, v154, s0
	global_load_b128 v[48:51], v[68:69], off offset:4160
	v_add_co_u32 v0, s0, s8, v0
	global_load_b128 v[62:65], v[66:67], off offset:4176
	v_mul_u32_u24_e32 v5, 0x795d, v170
	v_lshrrev_b32_e32 v74, 23, v4
	s_wait_alu 0xf1ff
	v_add_co_ci_u32_e64 v1, s0, s9, v1, s0
	v_add_co_u32 v2, s0, s8, v2
	s_wait_alu 0xf1ff
	v_add_co_ci_u32_e64 v3, s0, s9, v3, s0
	v_lshrrev_b32_e32 v4, 23, v5
	v_mul_lo_u16 v5, 0x10e, v74
	s_clause 0x3
	global_load_b128 v[76:79], v[66:67], off offset:4160
	global_load_b128 v[88:91], v[2:3], off offset:4176
	global_load_b128 v[80:83], v[0:1], off offset:4176
	global_load_b128 v[84:87], v[2:3], off offset:4160
	v_sub_nc_u16 v2, v123, v5
	global_load_b128 v[58:61], v[0:1], off offset:4160
	v_mul_u32_u24_e32 v3, 0x795d, v171
	v_mul_lo_u16 v4, 0x10e, v4
	v_add_nc_u32_e32 v96, 0x10e, v96
	v_and_b32_e32 v75, 0xffff, v2
	v_mul_u32_u24_e32 v5, 0x795d, v172
	v_lshrrev_b32_e32 v2, 23, v3
	v_sub_nc_u16 v3, v122, v4
	v_mul_u32_u24_e32 v227, 0x32a0, v74
	v_lshlrev_b32_e32 v4, 5, v75
	s_delay_alu instid0(VALU_DEP_4) | instskip(NEXT) | instid1(VALU_DEP_4)
	v_mul_lo_u16 v2, 0x10e, v2
	v_and_b32_e32 v73, 0xffff, v3
	global_load_b128 v[20:23], v4, s[8:9] offset:4176
	v_lshlrev_b64_e32 v[0:1], 4, v[96:97]
	global_load_b128 v[24:27], v4, s[8:9] offset:4160
	v_add_co_u32 v0, s0, s8, v0
	s_wait_alu 0xf1ff
	v_add_co_ci_u32_e64 v1, s0, s9, v1, s0
	v_cmp_lt_u32_e64 s0, 26, v112
	s_clause 0x1
	global_load_b128 v[92:95], v[0:1], off offset:4160
	global_load_b128 v[28:31], v[0:1], off offset:4176
	v_lshrrev_b32_e32 v0, 23, v5
	v_sub_nc_u16 v1, v121, v2
	v_lshlrev_b32_e32 v2, 5, v73
	s_wait_alu 0xf1ff
	v_cndmask_b32_e64 v96, 0, 0x32a0, s0
	v_mul_lo_u16 v0, 0x10e, v0
	v_and_b32_e32 v72, 0xffff, v1
	s_clause 0x1
	global_load_b128 v[16:19], v2, s[8:9] offset:4160
	global_load_b128 v[12:15], v2, s[8:9] offset:4176
	v_add3_u32 v70, 0, v96, v70
	v_sub_nc_u16 v0, v120, v0
	v_lshlrev_b32_e32 v1, 5, v72
	v_lshlrev_b32_e32 v96, 4, v75
	s_delay_alu instid0(VALU_DEP_3)
	v_and_b32_e32 v71, 0xffff, v0
	global_load_b128 v[4:7], v1, s[8:9] offset:4160
	v_lshlrev_b32_e32 v32, 5, v71
	s_clause 0x2
	global_load_b128 v[0:3], v1, s[8:9] offset:4176
	global_load_b128 v[8:11], v32, s[8:9] offset:4160
	;; [unrolled: 1-line block ×3, first 2 shown]
	ds_load_b128 v[100:103], v158 offset:12960
	ds_load_b128 v[104:107], v158 offset:25920
	;; [unrolled: 1-line block ×5, first 2 shown]
	ds_load_b128 v[36:39], v158
	v_lshl_add_u32 v71, v71, 4, 0
	s_wait_loadcnt_dscnt 0x1305
	v_mul_f64_e32 v[156:157], v[102:103], v[54:55]
	v_mul_f64_e32 v[173:174], v[100:101], v[54:55]
	ds_load_b128 v[136:139], v158 offset:28512
	ds_load_b128 v[54:57], v158 offset:24624
	;; [unrolled: 1-line block ×6, first 2 shown]
	s_wait_loadcnt_dscnt 0x120a
	v_mul_f64_e32 v[175:176], v[106:107], v[42:43]
	v_mul_f64_e32 v[177:178], v[104:105], v[42:43]
	ds_load_b128 v[169:172], v158 offset:19440
	s_wait_loadcnt_dscnt 0x1109
	v_mul_f64_e32 v[183:184], v[130:131], v[46:47]
	v_mul_f64_e32 v[185:186], v[128:129], v[46:47]
	s_wait_loadcnt 0x10
	v_mul_f64_e32 v[179:180], v[110:111], v[50:51]
	v_mul_f64_e32 v[181:182], v[108:109], v[50:51]
	s_wait_loadcnt_dscnt 0xf06
	v_mul_f64_e32 v[189:190], v[138:139], v[64:65]
	v_mul_f64_e32 v[64:65], v[136:137], v[64:65]
	s_wait_loadcnt 0xe
	v_mul_f64_e32 v[187:188], v[134:135], v[78:79]
	v_mul_f64_e32 v[78:79], v[132:133], v[78:79]
	;; [unrolled: 6-line block ×3, first 2 shown]
	v_fma_f64 v[50:51], v[100:101], v[52:53], v[156:157]
	v_mul_f64_e32 v[156:157], v[150:151], v[86:87]
	v_mul_f64_e32 v[86:87], v[148:149], v[86:87]
	v_fma_f64 v[52:53], v[102:103], v[52:53], -v[173:174]
	ds_load_b128 v[100:103], v158 offset:32400
	v_fma_f64 v[42:43], v[104:105], v[40:41], v[175:176]
	v_fma_f64 v[40:41], v[106:107], v[40:41], -v[177:178]
	ds_load_b128 v[104:107], v158 offset:20736
	s_wait_dscnt 0x3
	v_mul_f64_e32 v[177:178], v[154:155], v[90:91]
	v_mul_f64_e32 v[90:91], v[152:153], v[90:91]
	v_fma_f64 v[46:47], v[128:129], v[44:45], v[183:184]
	v_fma_f64 v[44:45], v[130:131], v[44:45], -v[185:186]
	v_fma_f64 v[179:180], v[108:109], v[48:49], v[179:180]
	v_fma_f64 v[48:49], v[110:111], v[48:49], -v[181:182]
	ds_load_b128 v[108:111], v158 offset:33696
	ds_load_b128 v[173:176], v158 offset:34992
	;; [unrolled: 1-line block ×3, first 2 shown]
	v_fma_f64 v[136:137], v[136:137], v[62:63], v[189:190]
	v_fma_f64 v[138:139], v[138:139], v[62:63], -v[64:65]
	s_wait_loadcnt_dscnt 0x705
	v_mul_f64_e32 v[181:182], v[171:172], v[94:95]
	v_mul_f64_e32 v[94:95], v[169:170], v[94:95]
	v_fma_f64 v[183:184], v[132:133], v[76:77], v[187:188]
	v_fma_f64 v[185:186], v[134:135], v[76:77], -v[78:79]
	ds_load_b128 v[76:79], v158 offset:23328
	ds_load_b128 v[132:135], v167
	s_wait_loadcnt_dscnt 0x606
	v_mul_f64_e32 v[187:188], v[102:103], v[30:31]
	v_mul_f64_e32 v[30:31], v[100:101], v[30:31]
	v_fma_f64 v[140:141], v[140:141], v[58:59], v[191:192]
	v_fma_f64 v[142:143], v[142:143], v[58:59], -v[60:61]
	ds_load_b128 v[58:61], v158 offset:36288
	ds_load_b128 v[62:65], v158 offset:37584
	s_wait_dscnt 0x7
	v_mul_f64_e32 v[189:190], v[106:107], v[26:27]
	v_mul_f64_e32 v[191:192], v[104:105], v[26:27]
	s_wait_dscnt 0x6
	v_mul_f64_e32 v[195:196], v[110:111], v[22:23]
	v_mul_f64_e32 v[197:198], v[108:109], v[22:23]
	v_fma_f64 v[144:145], v[144:145], v[80:81], v[193:194]
	v_fma_f64 v[146:147], v[146:147], v[80:81], -v[82:83]
	s_wait_loadcnt_dscnt 0x504
	v_mul_f64_e32 v[193:194], v[130:131], v[18:19]
	v_mul_f64_e32 v[199:200], v[128:129], v[18:19]
	v_fma_f64 v[18:19], v[148:149], v[84:85], v[156:157]
	v_fma_f64 v[22:23], v[150:151], v[84:85], -v[86:87]
	s_wait_loadcnt 0x4
	v_mul_f64_e32 v[148:149], v[175:176], v[14:15]
	v_mul_f64_e32 v[150:151], v[173:174], v[14:15]
	s_wait_loadcnt_dscnt 0x303
	v_mul_f64_e32 v[156:157], v[78:79], v[6:7]
	v_mul_f64_e32 v[201:202], v[76:77], v[6:7]
	v_fma_f64 v[6:7], v[152:153], v[88:89], v[177:178]
	s_wait_loadcnt 0x1
	v_mul_f64_e32 v[177:178], v[56:57], v[10:11]
	v_mul_f64_e32 v[203:204], v[54:55], v[10:11]
	v_fma_f64 v[14:15], v[154:155], v[88:89], -v[90:91]
	s_wait_dscnt 0x1
	v_mul_f64_e32 v[152:153], v[60:61], v[2:3]
	v_mul_f64_e32 v[154:155], v[58:59], v[2:3]
	v_fma_f64 v[2:3], v[169:170], v[92:93], v[181:182]
	s_wait_loadcnt_dscnt 0x0
	v_mul_f64_e32 v[169:170], v[64:65], v[34:35]
	v_mul_f64_e32 v[34:35], v[62:63], v[34:35]
	v_fma_f64 v[10:11], v[171:172], v[92:93], -v[94:95]
	v_fma_f64 v[171:172], v[100:101], v[28:29], v[187:188]
	v_fma_f64 v[181:182], v[102:103], v[28:29], -v[30:31]
	ds_load_b128 v[26:29], v168
	ds_load_b128 v[80:83], v115
	v_add_f64_e32 v[30:31], v[52:53], v[40:41]
	ds_load_b128 v[84:87], v166
	ds_load_b128 v[88:91], v165
	;; [unrolled: 1-line block ×4, first 2 shown]
	v_fma_f64 v[187:188], v[104:105], v[24:25], v[189:190]
	v_fma_f64 v[189:190], v[106:107], v[24:25], -v[191:192]
	v_fma_f64 v[191:192], v[108:109], v[20:21], v[195:196]
	v_fma_f64 v[20:21], v[110:111], v[20:21], -v[197:198]
	v_add_f64_e32 v[24:25], v[50:51], v[42:43]
	ds_load_b128 v[104:107], v162
	ds_load_b128 v[108:111], v161
	v_fma_f64 v[128:129], v[128:129], v[16:17], v[193:194]
	v_fma_f64 v[16:17], v[130:131], v[16:17], -v[199:200]
	v_add_f64_e64 v[193:194], v[48:49], -v[44:45]
	global_wb scope:SCOPE_SE
	s_wait_dscnt 0x0
	v_fma_f64 v[130:131], v[173:174], v[12:13], v[148:149]
	v_fma_f64 v[12:13], v[175:176], v[12:13], -v[150:151]
	v_add_f64_e32 v[150:151], v[185:186], v[138:139]
	v_fma_f64 v[76:77], v[76:77], v[4:5], v[156:157]
	v_fma_f64 v[4:5], v[78:79], v[4:5], -v[201:202]
	v_fma_f64 v[54:55], v[54:55], v[8:9], v[177:178]
	v_fma_f64 v[8:9], v[56:57], v[8:9], -v[203:204]
	v_add_f64_e32 v[56:57], v[140:141], v[144:145]
	v_fma_f64 v[58:59], v[58:59], v[0:1], v[152:153]
	v_add_f64_e32 v[152:153], v[142:143], v[146:147]
	v_add_f64_e32 v[148:149], v[48:49], v[44:45]
	v_fma_f64 v[60:61], v[60:61], v[0:1], -v[154:155]
	v_add_f64_e32 v[154:155], v[28:29], v[48:49]
	v_add_f64_e32 v[156:157], v[26:27], v[179:180]
	;; [unrolled: 1-line block ×3, first 2 shown]
	v_fma_f64 v[62:63], v[62:63], v[32:33], v[169:170]
	v_fma_f64 v[64:65], v[64:65], v[32:33], -v[34:35]
	v_add_f64_e32 v[177:178], v[132:133], v[140:141]
	v_add_f64_e32 v[78:79], v[179:180], v[46:47]
	;; [unrolled: 1-line block ×15, first 2 shown]
	v_add_f64_e64 v[179:180], v[179:180], -v[46:47]
	v_add_f64_e32 v[199:200], v[84:85], v[18:19]
	v_fma_f64 v[207:208], v[30:31], -0.5, v[38:39]
	v_add_f64_e32 v[209:210], v[90:91], v[10:11]
	v_add_f64_e32 v[217:218], v[92:93], v[187:188]
	v_add_f64_e64 v[142:143], v[142:143], -v[146:147]
	v_add_f64_e64 v[140:141], v[140:141], -v[144:145]
	v_fma_f64 v[205:206], v[24:25], -0.5, v[36:37]
	v_fma_f64 v[82:83], v[150:151], -0.5, v[82:83]
	v_add_f64_e32 v[150:151], v[94:95], v[189:190]
	v_add_f64_e64 v[52:53], v[52:53], -v[40:41]
	v_add_f64_e64 v[50:51], v[50:51], -v[42:43]
	;; [unrolled: 1-line block ×3, first 2 shown]
	v_fma_f64 v[132:133], v[56:57], -0.5, v[132:133]
	v_add_f64_e32 v[56:57], v[128:129], v[130:131]
	v_fma_f64 v[134:135], v[152:153], -0.5, v[134:135]
	v_add_f64_e32 v[152:153], v[16:17], v[12:13]
	;; [unrolled: 2-line block ×3, first 2 shown]
	v_add_f64_e32 v[28:29], v[156:157], v[46:47]
	v_add_f64_e32 v[44:45], v[76:77], v[58:59]
	;; [unrolled: 1-line block ×7, first 2 shown]
	v_fma_f64 v[78:79], v[78:79], -0.5, v[26:27]
	v_add_f64_e32 v[26:27], v[32:33], v[40:41]
	v_add_f64_e32 v[24:25], v[34:35], v[42:43]
	;; [unrolled: 1-line block ×4, first 2 shown]
	v_fma_f64 v[84:85], v[48:49], -0.5, v[84:85]
	v_add_f64_e32 v[48:49], v[110:111], v[8:9]
	v_add_f64_e64 v[183:184], v[183:184], -v[136:137]
	v_fma_f64 v[80:81], v[0:1], -0.5, v[80:81]
	v_add_f64_e32 v[34:35], v[169:170], v[138:139]
	v_add_f64_e32 v[138:139], v[104:105], v[76:77]
	;; [unrolled: 1-line block ×4, first 2 shown]
	v_fma_f64 v[154:155], v[195:196], -0.5, v[86:87]
	v_add_f64_e32 v[86:87], v[108:109], v[54:55]
	v_add_f64_e64 v[156:157], v[22:23], -v[14:15]
	v_add_f64_e64 v[169:170], v[18:19], -v[6:7]
	;; [unrolled: 1-line block ×5, first 2 shown]
	v_add_f64_e32 v[2:3], v[197:198], v[14:15]
	v_fma_f64 v[128:129], v[201:202], -0.5, v[88:89]
	v_fma_f64 v[197:198], v[203:204], -0.5, v[90:91]
	v_add_f64_e64 v[177:178], v[189:190], -v[20:21]
	v_add_f64_e64 v[187:188], v[187:188], -v[191:192]
	;; [unrolled: 1-line block ×3, first 2 shown]
	v_add_f64_e32 v[4:5], v[211:212], v[171:172]
	v_fma_f64 v[171:172], v[213:214], -0.5, v[92:93]
	v_fma_f64 v[94:95], v[215:216], -0.5, v[94:95]
	v_add_f64_e64 v[189:190], v[16:17], -v[12:13]
	v_add_f64_e32 v[10:11], v[150:151], v[20:21]
	v_fma_f64 v[150:151], v[56:57], -0.5, v[100:101]
	v_fma_f64 v[152:153], v[152:153], -0.5, v[102:103]
	v_add_f64_e64 v[221:222], v[76:77], -v[58:59]
	v_add_f64_e64 v[223:224], v[8:9], -v[64:65]
	v_add_f64_e32 v[0:1], v[199:200], v[6:7]
	v_add_f64_e32 v[6:7], v[209:210], v[181:182]
	;; [unrolled: 1-line block ×3, first 2 shown]
	v_fma_f64 v[181:182], v[44:45], -0.5, v[104:105]
	v_fma_f64 v[191:192], v[46:47], -0.5, v[106:107]
	v_add_f64_e64 v[225:226], v[54:55], -v[62:63]
	v_fma_f64 v[199:200], v[144:145], -0.5, v[108:109]
	v_fma_f64 v[201:202], v[146:147], -0.5, v[110:111]
	v_add_f64_e32 v[14:15], v[40:41], v[12:13]
	v_add_f64_e32 v[12:13], v[42:43], v[130:131]
	v_fma_f64 v[40:41], v[52:53], s[4:5], v[205:206]
	v_fma_f64 v[42:43], v[50:51], s[10:11], v[207:208]
	;; [unrolled: 1-line block ×4, first 2 shown]
	v_add_f64_e32 v[22:23], v[48:49], v[64:65]
	v_fma_f64 v[48:49], v[193:194], s[4:5], v[78:79]
	v_fma_f64 v[50:51], v[179:180], s[10:11], v[148:149]
	;; [unrolled: 1-line block ×4, first 2 shown]
	v_add_f64_e32 v[16:17], v[138:139], v[58:59]
	v_fma_f64 v[56:57], v[185:186], s[4:5], v[80:81]
	v_fma_f64 v[58:59], v[183:184], s[10:11], v[82:83]
	v_add_f64_e32 v[18:19], v[136:137], v[60:61]
	v_add_f64_e32 v[20:21], v[86:87], v[62:63]
	v_fma_f64 v[60:61], v[185:186], s[10:11], v[80:81]
	v_fma_f64 v[62:63], v[183:184], s[4:5], v[82:83]
	;; [unrolled: 1-line block ×30, first 2 shown]
	v_lshl_add_u32 v64, v73, 4, 0
	v_lshl_add_u32 v65, v72, 4, 0
	v_add3_u32 v72, 0, v227, v96
	s_barrier_signal -1
	s_barrier_wait -1
	global_inv scope:SCOPE_SE
	ds_store_b128 v158, v[24:27]
	ds_store_b128 v158, v[40:43] offset:4320
	ds_store_b128 v158, v[44:47] offset:8640
	ds_store_b128 v168, v[28:31]
	ds_store_b128 v168, v[48:51] offset:4320
	ds_store_b128 v168, v[52:55] offset:8640
	;; [unrolled: 3-line block ×4, first 2 shown]
	ds_store_b128 v158, v[0:3] offset:13824
	ds_store_b128 v158, v[4:7] offset:15120
	;; [unrolled: 1-line block ×6, first 2 shown]
	ds_store_b128 v72, v[8:11]
	ds_store_b128 v72, v[104:107] offset:4320
	ds_store_b128 v72, v[108:111] offset:8640
	;; [unrolled: 1-line block ×11, first 2 shown]
	global_wb scope:SCOPE_SE
	s_wait_dscnt 0x0
	s_barrier_signal -1
	s_barrier_wait -1
	global_inv scope:SCOPE_SE
	s_clause 0x3
	global_load_b128 v[4:7], v[98:99], off offset:12800
	global_load_b128 v[0:3], v[98:99], off offset:12816
	;; [unrolled: 1-line block ×4, first 2 shown]
	v_lshlrev_b32_e32 v96, 1, v126
	s_clause 0x1
	global_load_b128 v[12:15], v[66:67], off offset:12800
	global_load_b128 v[24:27], v[66:67], off offset:12816
	v_lshlrev_b64_e32 v[20:21], 4, v[96:97]
	v_lshlrev_b32_e32 v96, 1, v125
	s_delay_alu instid0(VALU_DEP_2) | instskip(NEXT) | instid1(VALU_DEP_2)
	v_add_co_u32 v20, s0, s8, v20
	v_lshlrev_b64_e32 v[22:23], 4, v[96:97]
	s_wait_alu 0xf1ff
	s_delay_alu instid0(VALU_DEP_4)
	v_add_co_ci_u32_e64 v21, s0, s9, v21, s0
	v_lshlrev_b32_e32 v96, 1, v124
	s_clause 0x1
	global_load_b128 v[52:55], v[20:21], off offset:12800
	global_load_b128 v[56:59], v[20:21], off offset:12816
	v_add_co_u32 v20, s0, s8, v22
	s_wait_alu 0xf1ff
	v_add_co_ci_u32_e64 v21, s0, s9, v23, s0
	v_lshlrev_b64_e32 v[28:29], 4, v[96:97]
	v_lshlrev_b32_e32 v96, 1, v123
	s_clause 0x1
	global_load_b128 v[68:71], v[20:21], off offset:12800
	global_load_b128 v[64:67], v[20:21], off offset:12816
	v_add_co_u32 v28, s0, s8, v28
	s_wait_alu 0xf1ff
	v_add_co_ci_u32_e64 v29, s0, s9, v29, s0
	v_lshlrev_b64_e32 v[22:23], 4, v[96:97]
	v_lshlrev_b32_e32 v96, 1, v122
	s_clause 0x1
	global_load_b128 v[76:79], v[28:29], off offset:12800
	global_load_b128 v[72:75], v[28:29], off offset:12816
	v_lshlrev_b64_e32 v[20:21], 4, v[96:97]
	v_lshlrev_b32_e32 v96, 1, v121
	v_add_co_u32 v22, s0, s8, v22
	s_wait_alu 0xf1ff
	v_add_co_ci_u32_e64 v23, s0, s9, v23, s0
	s_delay_alu instid0(VALU_DEP_3) | instskip(SKIP_4) | instid1(VALU_DEP_3)
	v_lshlrev_b64_e32 v[32:33], 4, v[96:97]
	v_lshlrev_b32_e32 v96, 1, v120
	v_add_co_u32 v34, s0, s8, v20
	s_wait_alu 0xf1ff
	v_add_co_ci_u32_e64 v35, s0, s9, v21, s0
	v_lshlrev_b64_e32 v[44:45], 4, v[96:97]
	v_add_co_u32 v32, s0, s8, v32
	s_clause 0x1
	global_load_b128 v[60:63], v[22:23], off offset:12800
	global_load_b128 v[20:23], v[22:23], off offset:12816
	s_wait_alu 0xf1ff
	v_add_co_ci_u32_e64 v33, s0, s9, v33, s0
	v_add_co_u32 v48, s0, s8, v44
	s_clause 0x2
	global_load_b128 v[28:31], v[34:35], off offset:12800
	global_load_b128 v[40:43], v[34:35], off offset:12816
	;; [unrolled: 1-line block ×3, first 2 shown]
	s_wait_alu 0xf1ff
	v_add_co_ci_u32_e64 v49, s0, s9, v45, s0
	s_clause 0x2
	global_load_b128 v[32:35], v[32:33], off offset:12816
	global_load_b128 v[44:47], v[48:49], off offset:12800
	;; [unrolled: 1-line block ×3, first 2 shown]
	ds_load_b128 v[80:83], v158 offset:12960
	ds_load_b128 v[84:87], v158 offset:25920
	;; [unrolled: 1-line block ×5, first 2 shown]
	ds_load_b128 v[102:105], v158
	ds_load_b128 v[106:109], v158 offset:28512
	ds_load_b128 v[128:131], v158 offset:24624
	;; [unrolled: 1-line block ×9, first 2 shown]
	s_wait_loadcnt_dscnt 0x130e
	v_mul_f64_e32 v[110:111], v[82:83], v[6:7]
	v_mul_f64_e32 v[6:7], v[80:81], v[6:7]
	s_wait_loadcnt_dscnt 0x110c
	v_mul_f64_e32 v[177:178], v[90:91], v[10:11]
	s_wait_loadcnt_dscnt 0x100b
	v_mul_f64_e32 v[179:180], v[94:95], v[18:19]
	v_mul_f64_e32 v[18:19], v[92:93], v[18:19]
	;; [unrolled: 1-line block ×5, first 2 shown]
	s_wait_loadcnt_dscnt 0xf0a
	v_mul_f64_e32 v[181:182], v[100:101], v[14:15]
	v_mul_f64_e32 v[183:184], v[98:99], v[14:15]
	s_wait_loadcnt_dscnt 0xe08
	v_mul_f64_e32 v[185:186], v[108:109], v[26:27]
	v_mul_f64_e32 v[26:27], v[106:107], v[26:27]
	s_wait_loadcnt_dscnt 0xd06
	v_mul_f64_e32 v[187:188], v[134:135], v[54:55]
	s_wait_loadcnt_dscnt 0xc04
	v_mul_f64_e32 v[189:190], v[138:139], v[58:59]
	v_mul_f64_e32 v[54:55], v[132:133], v[54:55]
	;; [unrolled: 1-line block ×3, first 2 shown]
	s_wait_loadcnt 0xb
	v_mul_f64_e32 v[193:194], v[142:143], v[70:71]
	v_mul_f64_e32 v[70:71], v[140:141], v[70:71]
	v_fma_f64 v[110:111], v[80:81], v[4:5], v[110:111]
	v_fma_f64 v[191:192], v[82:83], v[4:5], -v[6:7]
	v_fma_f64 v[88:89], v[88:89], v[8:9], v[177:178]
	s_wait_loadcnt_dscnt 0xa03
	v_mul_f64_e32 v[177:178], v[146:147], v[66:67]
	v_mul_f64_e32 v[66:67], v[144:145], v[66:67]
	ds_load_b128 v[2:5], v158 offset:33696
	ds_load_b128 v[80:83], v158 offset:34992
	v_fma_f64 v[92:93], v[92:93], v[16:17], v[179:180]
	v_fma_f64 v[18:19], v[94:95], v[16:17], -v[18:19]
	s_wait_loadcnt_dscnt 0x903
	v_mul_f64_e32 v[94:95], v[154:155], v[78:79]
	v_mul_f64_e32 v[78:79], v[152:153], v[78:79]
	s_wait_loadcnt 0x8
	v_mul_f64_e32 v[179:180], v[150:151], v[74:75]
	v_mul_f64_e32 v[74:75], v[148:149], v[74:75]
	v_fma_f64 v[156:157], v[84:85], v[0:1], v[156:157]
	v_fma_f64 v[0:1], v[86:87], v[0:1], -v[173:174]
	ds_load_b128 v[84:87], v158 offset:22032
	ds_load_b128 v[173:176], v158 offset:23328
	v_fma_f64 v[90:91], v[90:91], v[8:9], -v[10:11]
	ds_load_b128 v[6:9], v158 offset:36288
	ds_load_b128 v[14:17], v158 offset:37584
	v_fma_f64 v[98:99], v[98:99], v[12:13], v[181:182]
	v_fma_f64 v[100:101], v[100:101], v[12:13], -v[183:184]
	v_fma_f64 v[106:107], v[106:107], v[24:25], v[185:186]
	v_fma_f64 v[26:27], v[108:109], v[24:25], -v[26:27]
	s_wait_loadcnt_dscnt 0x706
	v_mul_f64_e32 v[108:109], v[171:172], v[62:63]
	v_mul_f64_e32 v[181:182], v[169:170], v[62:63]
	v_fma_f64 v[132:133], v[132:133], v[52:53], v[187:188]
	s_wait_loadcnt_dscnt 0x605
	v_mul_f64_e32 v[183:184], v[4:5], v[22:23]
	v_mul_f64_e32 v[185:186], v[2:3], v[22:23]
	v_fma_f64 v[136:137], v[136:137], v[56:57], v[189:190]
	s_wait_loadcnt_dscnt 0x404
	v_mul_f64_e32 v[195:196], v[82:83], v[42:43]
	v_mul_f64_e32 v[42:43], v[80:81], v[42:43]
	v_fma_f64 v[134:135], v[134:135], v[52:53], -v[54:55]
	v_fma_f64 v[138:139], v[138:139], v[56:57], -v[58:59]
	ds_load_b128 v[10:13], v167
	v_fma_f64 v[140:141], v[140:141], v[68:69], v[193:194]
	s_wait_dscnt 0x4
	v_mul_f64_e32 v[187:188], v[86:87], v[30:31]
	v_mul_f64_e32 v[30:31], v[84:85], v[30:31]
	s_wait_loadcnt_dscnt 0x303
	v_mul_f64_e32 v[189:190], v[175:176], v[38:39]
	v_mul_f64_e32 v[38:39], v[173:174], v[38:39]
	s_wait_loadcnt_dscnt 0x202
	v_mul_f64_e32 v[197:198], v[8:9], v[34:35]
	v_mul_f64_e32 v[34:35], v[6:7], v[34:35]
	v_fma_f64 v[142:143], v[142:143], v[68:69], -v[70:71]
	s_wait_loadcnt 0x1
	v_mul_f64_e32 v[193:194], v[130:131], v[46:47]
	v_mul_f64_e32 v[46:47], v[128:129], v[46:47]
	s_wait_loadcnt_dscnt 0x1
	v_mul_f64_e32 v[199:200], v[16:17], v[50:51]
	v_mul_f64_e32 v[201:202], v[14:15], v[50:51]
	v_fma_f64 v[144:145], v[144:145], v[64:65], v[177:178]
	v_fma_f64 v[146:147], v[146:147], v[64:65], -v[66:67]
	v_fma_f64 v[94:95], v[152:153], v[76:77], v[94:95]
	v_fma_f64 v[78:79], v[154:155], v[76:77], -v[78:79]
	;; [unrolled: 2-line block ×3, first 2 shown]
	ds_load_b128 v[22:25], v168
	ds_load_b128 v[50:53], v115
	;; [unrolled: 1-line block ×6, first 2 shown]
	v_fma_f64 v[108:109], v[169:170], v[60:61], v[108:109]
	v_fma_f64 v[152:153], v[171:172], v[60:61], -v[181:182]
	ds_load_b128 v[58:61], v162
	ds_load_b128 v[74:77], v161
	v_fma_f64 v[154:155], v[2:3], v[20:21], v[183:184]
	v_fma_f64 v[169:170], v[4:5], v[20:21], -v[185:186]
	v_add_f64_e32 v[20:21], v[110:111], v[156:157]
	v_fma_f64 v[80:81], v[80:81], v[40:41], v[195:196]
	s_wait_dscnt 0x8
	v_add_f64_e32 v[181:182], v[10:11], v[132:133]
	v_add_f64_e32 v[179:180], v[12:13], v[134:135]
	global_wb scope:SCOPE_SE
	s_wait_dscnt 0x0
	v_add_f64_e32 v[171:172], v[24:25], v[90:91]
	v_add_f64_e32 v[185:186], v[54:55], v[140:141]
	v_fma_f64 v[2:3], v[84:85], v[28:29], v[187:188]
	v_fma_f64 v[4:5], v[86:87], v[28:29], -v[30:31]
	v_add_f64_e32 v[28:29], v[191:192], v[0:1]
	v_fma_f64 v[30:31], v[82:83], v[40:41], -v[42:43]
	v_add_f64_e32 v[40:41], v[88:89], v[92:93]
	v_add_f64_e32 v[42:43], v[90:91], v[18:19]
	v_fma_f64 v[82:83], v[173:174], v[36:37], v[189:190]
	v_fma_f64 v[36:37], v[175:176], v[36:37], -v[38:39]
	v_fma_f64 v[86:87], v[6:7], v[32:33], v[197:198]
	v_fma_f64 v[32:33], v[8:9], v[32:33], -v[34:35]
	v_add_f64_e32 v[84:85], v[100:101], v[26:27]
	v_fma_f64 v[34:35], v[128:129], v[44:45], v[193:194]
	v_fma_f64 v[44:45], v[130:131], v[44:45], -v[46:47]
	v_fma_f64 v[46:47], v[14:15], v[48:49], v[199:200]
	v_fma_f64 v[48:49], v[16:17], v[48:49], -v[201:202]
	v_add_f64_e32 v[14:15], v[140:141], v[144:145]
	v_add_f64_e32 v[16:17], v[142:143], v[146:147]
	;; [unrolled: 1-line block ×12, first 2 shown]
	v_add_f64_e64 v[110:111], v[110:111], -v[156:157]
	v_add_f64_e32 v[193:194], v[64:65], v[78:79]
	v_add_f64_e32 v[197:198], v[108:109], v[154:155]
	;; [unrolled: 1-line block ×3, first 2 shown]
	v_fma_f64 v[102:103], v[20:21], -0.5, v[102:103]
	v_add_f64_e32 v[177:178], v[50:51], v[98:99]
	v_add_f64_e32 v[195:196], v[62:63], v[94:95]
	v_add_f64_e64 v[90:91], v[90:91], -v[18:19]
	v_add_f64_e64 v[88:89], v[88:89], -v[92:93]
	;; [unrolled: 1-line block ×4, first 2 shown]
	v_add_f64_e32 v[20:21], v[2:3], v[80:81]
	v_add_f64_e64 v[134:135], v[134:135], -v[138:139]
	v_fma_f64 v[104:105], v[28:29], -0.5, v[104:105]
	v_add_f64_e32 v[28:29], v[4:5], v[30:31]
	v_fma_f64 v[205:206], v[40:41], -0.5, v[22:23]
	v_fma_f64 v[207:208], v[42:43], -0.5, v[24:25]
	v_add_f64_e32 v[40:41], v[72:73], v[4:5]
	v_add_f64_e32 v[42:43], v[70:71], v[2:3]
	;; [unrolled: 1-line block ×4, first 2 shown]
	v_fma_f64 v[84:85], v[84:85], -0.5, v[52:53]
	v_add_f64_e64 v[52:53], v[191:192], -v[0:1]
	v_add_f64_e64 v[132:133], v[132:133], -v[136:137]
	v_add_f64_e64 v[142:143], v[142:143], -v[146:147]
	v_add_f64_e64 v[140:141], v[140:141], -v[144:145]
	v_fma_f64 v[191:192], v[14:15], -0.5, v[54:55]
	v_fma_f64 v[215:216], v[16:17], -0.5, v[56:57]
	v_add_f64_e32 v[54:55], v[34:35], v[46:47]
	v_add_f64_e32 v[56:57], v[44:45], v[48:49]
	v_fma_f64 v[189:190], v[189:190], -0.5, v[64:65]
	v_add_f64_e32 v[64:65], v[74:75], v[34:35]
	v_fma_f64 v[209:210], v[38:39], -0.5, v[50:51]
	v_add_f64_e32 v[38:39], v[60:61], v[36:37]
	v_add_f64_e32 v[50:51], v[58:59], v[82:83]
	v_fma_f64 v[187:188], v[187:188], -0.5, v[62:63]
	v_add_f64_e32 v[62:63], v[76:77], v[44:45]
	v_fma_f64 v[211:212], v[6:7], -0.5, v[10:11]
	v_fma_f64 v[213:214], v[8:9], -0.5, v[12:13]
	v_add_f64_e64 v[217:218], v[78:79], -v[150:151]
	v_add_f64_e64 v[94:95], v[94:95], -v[148:149]
	v_add_f64_e32 v[201:202], v[68:69], v[152:153]
	v_add_f64_e32 v[203:204], v[66:67], v[108:109]
	v_add_f64_e64 v[152:153], v[152:153], -v[169:170]
	v_add_f64_e64 v[108:109], v[108:109], -v[154:155]
	v_fma_f64 v[197:198], v[197:198], -0.5, v[66:67]
	v_fma_f64 v[199:200], v[199:200], -0.5, v[68:69]
	v_add_f64_e64 v[219:220], v[4:5], -v[30:31]
	v_add_f64_e64 v[221:222], v[2:3], -v[80:81]
	v_fma_f64 v[231:232], v[20:21], -0.5, v[70:71]
	v_add_f64_e64 v[223:224], v[36:37], -v[32:33]
	v_add_f64_e64 v[225:226], v[82:83], -v[86:87]
	;; [unrolled: 3-line block ×3, first 2 shown]
	v_add_f64_e32 v[14:15], v[179:180], v[138:139]
	v_add_f64_e32 v[12:13], v[181:182], v[136:137]
	v_fma_f64 v[235:236], v[22:23], -0.5, v[58:59]
	v_fma_f64 v[237:238], v[24:25], -0.5, v[60:61]
	v_add_f64_e32 v[2:3], v[128:129], v[0:1]
	v_add_f64_e32 v[0:1], v[130:131], v[156:157]
	;; [unrolled: 1-line block ×4, first 2 shown]
	v_fma_f64 v[40:41], v[52:53], s[4:5], v[102:103]
	v_fma_f64 v[42:43], v[110:111], s[10:11], v[104:105]
	;; [unrolled: 1-line block ×3, first 2 shown]
	v_fma_f64 v[136:137], v[54:55], -0.5, v[74:75]
	v_fma_f64 v[138:139], v[56:57], -0.5, v[76:77]
	v_add_f64_e32 v[6:7], v[171:172], v[18:19]
	v_add_f64_e32 v[36:37], v[64:65], v[46:47]
	v_fma_f64 v[46:47], v[110:111], s[4:5], v[104:105]
	v_add_f64_e32 v[4:5], v[173:174], v[92:93]
	v_add_f64_e32 v[34:35], v[38:39], v[32:33]
	;; [unrolled: 1-line block ×4, first 2 shown]
	v_fma_f64 v[48:49], v[90:91], s[4:5], v[205:206]
	v_fma_f64 v[50:51], v[88:89], s[10:11], v[207:208]
	v_fma_f64 v[52:53], v[90:91], s[10:11], v[205:206]
	v_fma_f64 v[54:55], v[88:89], s[4:5], v[207:208]
	v_add_f64_e32 v[10:11], v[175:176], v[26:27]
	v_add_f64_e32 v[8:9], v[177:178], v[106:107]
	v_fma_f64 v[56:57], v[100:101], s[4:5], v[209:210]
	v_fma_f64 v[58:59], v[98:99], s[10:11], v[84:85]
	;; [unrolled: 1-line block ×8, first 2 shown]
	v_add_f64_e32 v[18:19], v[183:184], v[146:147]
	v_add_f64_e32 v[16:17], v[185:186], v[144:145]
	v_fma_f64 v[72:73], v[142:143], s[4:5], v[191:192]
	v_fma_f64 v[74:75], v[140:141], s[10:11], v[215:216]
	v_fma_f64 v[76:77], v[142:143], s[10:11], v[191:192]
	v_fma_f64 v[78:79], v[140:141], s[4:5], v[215:216]
	v_add_f64_e32 v[22:23], v[193:194], v[150:151]
	v_add_f64_e32 v[20:21], v[195:196], v[148:149]
	v_fma_f64 v[80:81], v[217:218], s[4:5], v[187:188]
	v_fma_f64 v[82:83], v[94:95], s[10:11], v[189:190]
	v_fma_f64 v[84:85], v[217:218], s[10:11], v[187:188]
	v_fma_f64 v[86:87], v[94:95], s[4:5], v[189:190]
	;; [unrolled: 6-line block ×3, first 2 shown]
	v_fma_f64 v[98:99], v[219:220], s[4:5], v[231:232]
	v_fma_f64 v[100:101], v[221:222], s[10:11], v[233:234]
	v_fma_f64 v[102:103], v[219:220], s[10:11], v[231:232]
	v_fma_f64 v[104:105], v[221:222], s[4:5], v[233:234]
	v_fma_f64 v[106:107], v[223:224], s[4:5], v[235:236]
	v_fma_f64 v[108:109], v[225:226], s[10:11], v[237:238]
	v_fma_f64 v[128:129], v[223:224], s[10:11], v[235:236]
	v_fma_f64 v[130:131], v[225:226], s[4:5], v[237:238]
	v_fma_f64 v[132:133], v[227:228], s[4:5], v[136:137]
	v_fma_f64 v[134:135], v[229:230], s[10:11], v[138:139]
	v_fma_f64 v[136:137], v[227:228], s[10:11], v[136:137]
	v_fma_f64 v[138:139], v[229:230], s[4:5], v[138:139]
	s_barrier_signal -1
	s_barrier_wait -1
	global_inv scope:SCOPE_SE
	ds_store_b128 v158, v[0:3]
	ds_store_b128 v158, v[40:43] offset:12960
	ds_store_b128 v158, v[44:47] offset:25920
	ds_store_b128 v168, v[4:7]
	ds_store_b128 v168, v[48:51] offset:12960
	ds_store_b128 v168, v[52:55] offset:25920
	;; [unrolled: 3-line block ×10, first 2 shown]
	global_wb scope:SCOPE_SE
	s_wait_dscnt 0x0
	s_barrier_signal -1
	s_barrier_wait -1
	global_inv scope:SCOPE_SE
	ds_load_b128 v[4:7], v158
	v_sub_nc_u32_e32 v12, 0, v113
                                        ; implicit-def: $vgpr2_vgpr3
                                        ; implicit-def: $vgpr10_vgpr11
                                        ; implicit-def: $vgpr8_vgpr9
	v_cmpx_ne_u32_e32 0, v112
	s_xor_b32 s1, exec_lo, s1
	s_cbranch_execz .LBB0_15
; %bb.14:
	v_mov_b32_e32 v113, v97
	s_delay_alu instid0(VALU_DEP_1) | instskip(NEXT) | instid1(VALU_DEP_1)
	v_lshlrev_b64_e32 v[0:1], 4, v[112:113]
	v_add_co_u32 v0, s0, s8, v0
	s_wait_alu 0xf1ff
	s_delay_alu instid0(VALU_DEP_2)
	v_add_co_ci_u32_e64 v1, s0, s9, v1, s0
	global_load_b128 v[8:11], v[0:1], off offset:38720
	ds_load_b128 v[0:3], v12 offset:38880
	s_wait_dscnt 0x0
	v_add_f64_e64 v[13:14], v[4:5], -v[0:1]
	v_add_f64_e32 v[15:16], v[6:7], v[2:3]
	v_add_f64_e64 v[2:3], v[6:7], -v[2:3]
	v_add_f64_e32 v[0:1], v[4:5], v[0:1]
	s_delay_alu instid0(VALU_DEP_4) | instskip(NEXT) | instid1(VALU_DEP_4)
	v_mul_f64_e32 v[6:7], 0.5, v[13:14]
	v_mul_f64_e32 v[4:5], 0.5, v[15:16]
	s_delay_alu instid0(VALU_DEP_4) | instskip(SKIP_1) | instid1(VALU_DEP_3)
	v_mul_f64_e32 v[2:3], 0.5, v[2:3]
	s_wait_loadcnt 0x0
	v_mul_f64_e32 v[13:14], v[6:7], v[10:11]
	s_delay_alu instid0(VALU_DEP_2) | instskip(SKIP_1) | instid1(VALU_DEP_3)
	v_fma_f64 v[15:16], v[4:5], v[10:11], v[2:3]
	v_fma_f64 v[2:3], v[4:5], v[10:11], -v[2:3]
	v_fma_f64 v[17:18], v[0:1], 0.5, v[13:14]
	v_fma_f64 v[0:1], v[0:1], 0.5, -v[13:14]
	s_delay_alu instid0(VALU_DEP_4) | instskip(NEXT) | instid1(VALU_DEP_4)
	v_fma_f64 v[10:11], -v[8:9], v[6:7], v[15:16]
	v_fma_f64 v[2:3], -v[8:9], v[6:7], v[2:3]
	s_delay_alu instid0(VALU_DEP_4) | instskip(NEXT) | instid1(VALU_DEP_4)
	v_fma_f64 v[13:14], v[4:5], v[8:9], v[17:18]
	v_fma_f64 v[0:1], -v[4:5], v[8:9], v[0:1]
	v_dual_mov_b32 v8, v112 :: v_dual_mov_b32 v9, v113
                                        ; implicit-def: $vgpr4_vgpr5
	ds_store_b64 v158, v[13:14]
.LBB0_15:
	s_wait_alu 0xfffe
	s_or_saveexec_b32 s0, s1
	v_mul_i32_i24_e32 v14, 0xffffff70, v114
	v_mul_i32_i24_e32 v13, 0xffffff70, v127
	s_wait_alu 0xfffe
	s_xor_b32 exec_lo, exec_lo, s0
	s_cbranch_execz .LBB0_17
; %bb.16:
	s_wait_dscnt 0x0
	v_add_f64_e32 v[15:16], v[4:5], v[6:7]
	v_add_f64_e64 v[0:1], v[4:5], -v[6:7]
	v_mov_b32_e32 v6, 0
	v_mov_b32_e32 v10, 0
	v_dual_mov_b32 v11, 0 :: v_dual_mov_b32 v8, 0
	s_delay_alu instid0(VALU_DEP_2)
	v_mov_b32_e32 v2, v10
	ds_load_b64 v[4:5], v6 offset:19448
	v_mov_b32_e32 v9, 0
	v_mov_b32_e32 v3, v11
	s_wait_dscnt 0x0
	v_xor_b32_e32 v5, 0x80000000, v5
	ds_store_b64 v158, v[15:16]
	ds_store_b64 v6, v[4:5] offset:19448
.LBB0_17:
	s_or_b32 exec_lo, exec_lo, s0
	v_dual_mov_b32 v115, 0 :: v_dual_add_nc_u32 v14, v159, v14
	v_lshlrev_b64_e32 v[8:9], 4, v[8:9]
	s_wait_dscnt 0x0
	s_delay_alu instid0(VALU_DEP_2) | instskip(SKIP_1) | instid1(VALU_DEP_1)
	v_lshlrev_b64_e32 v[4:5], 4, v[114:115]
	v_mov_b32_e32 v128, v115
	v_lshlrev_b64_e32 v[15:16], 4, v[127:128]
	v_mov_b32_e32 v127, v115
	s_delay_alu instid0(VALU_DEP_4) | instskip(SKIP_2) | instid1(VALU_DEP_4)
	v_add_co_u32 v4, s0, s8, v4
	s_wait_alu 0xf1ff
	v_add_co_ci_u32_e64 v5, s0, s9, v5, s0
	v_add_co_u32 v15, s0, s8, v15
	s_wait_alu 0xf1ff
	v_add_co_ci_u32_e64 v16, s0, s9, v16, s0
	s_clause 0x1
	global_load_b128 v[4:7], v[4:5], off offset:38720
	global_load_b128 v[15:18], v[15:16], off offset:38720
	ds_store_b64 v158, v[10:11] offset:8
	ds_store_b128 v12, v[0:3] offset:38880
	ds_load_b128 v[0:3], v14
	ds_load_b128 v[19:22], v12 offset:37584
	s_wait_dscnt 0x0
	v_add_f64_e64 v[10:11], v[0:1], -v[19:20]
	v_add_f64_e32 v[23:24], v[2:3], v[21:22]
	v_add_f64_e64 v[2:3], v[2:3], -v[21:22]
	v_add_f64_e32 v[0:1], v[0:1], v[19:20]
	s_delay_alu instid0(VALU_DEP_4) | instskip(NEXT) | instid1(VALU_DEP_4)
	v_mul_f64_e32 v[10:11], 0.5, v[10:11]
	v_mul_f64_e32 v[21:22], 0.5, v[23:24]
	s_delay_alu instid0(VALU_DEP_4) | instskip(SKIP_1) | instid1(VALU_DEP_3)
	v_mul_f64_e32 v[2:3], 0.5, v[2:3]
	s_wait_loadcnt 0x1
	v_mul_f64_e32 v[19:20], v[10:11], v[6:7]
	s_delay_alu instid0(VALU_DEP_2) | instskip(SKIP_1) | instid1(VALU_DEP_3)
	v_fma_f64 v[23:24], v[21:22], v[6:7], v[2:3]
	v_fma_f64 v[6:7], v[21:22], v[6:7], -v[2:3]
	v_fma_f64 v[25:26], v[0:1], 0.5, v[19:20]
	v_fma_f64 v[19:20], v[0:1], 0.5, -v[19:20]
	s_delay_alu instid0(VALU_DEP_4) | instskip(NEXT) | instid1(VALU_DEP_4)
	v_fma_f64 v[2:3], -v[4:5], v[10:11], v[23:24]
	v_fma_f64 v[6:7], -v[4:5], v[10:11], v[6:7]
	v_lshlrev_b64_e32 v[10:11], 4, v[126:127]
	v_mov_b32_e32 v126, v115
	s_delay_alu instid0(VALU_DEP_2) | instskip(SKIP_1) | instid1(VALU_DEP_3)
	v_add_co_u32 v10, s0, s8, v10
	s_wait_alu 0xf1ff
	v_add_co_ci_u32_e64 v11, s0, s9, v11, s0
	v_fma_f64 v[0:1], v[21:22], v[4:5], v[25:26]
	v_fma_f64 v[4:5], -v[21:22], v[4:5], v[19:20]
	global_load_b128 v[19:22], v[10:11], off offset:38720
	v_add_nc_u32_e32 v25, v160, v13
	ds_store_b128 v14, v[0:3]
	ds_store_b128 v12, v[4:7] offset:37584
	ds_load_b128 v[0:3], v25
	ds_load_b128 v[4:7], v12 offset:36288
	s_wait_dscnt 0x0
	v_add_f64_e64 v[10:11], v[0:1], -v[4:5]
	v_add_f64_e32 v[13:14], v[2:3], v[6:7]
	v_add_f64_e64 v[2:3], v[2:3], -v[6:7]
	v_add_f64_e32 v[0:1], v[0:1], v[4:5]
	s_delay_alu instid0(VALU_DEP_4) | instskip(NEXT) | instid1(VALU_DEP_4)
	v_mul_f64_e32 v[6:7], 0.5, v[10:11]
	v_mul_f64_e32 v[10:11], 0.5, v[13:14]
	s_delay_alu instid0(VALU_DEP_4) | instskip(SKIP_1) | instid1(VALU_DEP_3)
	v_mul_f64_e32 v[2:3], 0.5, v[2:3]
	s_wait_loadcnt 0x1
	v_mul_f64_e32 v[4:5], v[6:7], v[17:18]
	s_delay_alu instid0(VALU_DEP_2) | instskip(SKIP_1) | instid1(VALU_DEP_3)
	v_fma_f64 v[13:14], v[10:11], v[17:18], v[2:3]
	v_fma_f64 v[17:18], v[10:11], v[17:18], -v[2:3]
	v_fma_f64 v[23:24], v[0:1], 0.5, v[4:5]
	v_fma_f64 v[4:5], v[0:1], 0.5, -v[4:5]
	s_delay_alu instid0(VALU_DEP_4) | instskip(NEXT) | instid1(VALU_DEP_4)
	v_fma_f64 v[2:3], -v[15:16], v[6:7], v[13:14]
	v_fma_f64 v[6:7], -v[15:16], v[6:7], v[17:18]
	s_delay_alu instid0(VALU_DEP_4) | instskip(NEXT) | instid1(VALU_DEP_4)
	v_fma_f64 v[0:1], v[10:11], v[15:16], v[23:24]
	v_fma_f64 v[4:5], -v[10:11], v[15:16], v[4:5]
	v_lshlrev_b64_e32 v[10:11], 4, v[125:126]
	v_mov_b32_e32 v125, v115
	s_delay_alu instid0(VALU_DEP_2) | instskip(SKIP_1) | instid1(VALU_DEP_3)
	v_add_co_u32 v10, s0, s8, v10
	s_wait_alu 0xf1ff
	v_add_co_ci_u32_e64 v11, s0, s9, v11, s0
	global_load_b128 v[13:16], v[10:11], off offset:38720
	ds_store_b128 v25, v[0:3]
	ds_store_b128 v12, v[4:7] offset:36288
	ds_load_b128 v[0:3], v167
	ds_load_b128 v[4:7], v12 offset:34992
	s_wait_dscnt 0x0
	v_add_f64_e64 v[10:11], v[0:1], -v[4:5]
	v_add_f64_e32 v[17:18], v[2:3], v[6:7]
	v_add_f64_e64 v[2:3], v[2:3], -v[6:7]
	v_add_f64_e32 v[0:1], v[0:1], v[4:5]
	s_delay_alu instid0(VALU_DEP_4) | instskip(NEXT) | instid1(VALU_DEP_4)
	v_mul_f64_e32 v[6:7], 0.5, v[10:11]
	v_mul_f64_e32 v[10:11], 0.5, v[17:18]
	s_delay_alu instid0(VALU_DEP_4) | instskip(SKIP_1) | instid1(VALU_DEP_3)
	v_mul_f64_e32 v[2:3], 0.5, v[2:3]
	s_wait_loadcnt 0x1
	v_mul_f64_e32 v[4:5], v[6:7], v[21:22]
	s_delay_alu instid0(VALU_DEP_2) | instskip(SKIP_1) | instid1(VALU_DEP_3)
	v_fma_f64 v[17:18], v[10:11], v[21:22], v[2:3]
	v_fma_f64 v[21:22], v[10:11], v[21:22], -v[2:3]
	v_fma_f64 v[23:24], v[0:1], 0.5, v[4:5]
	v_fma_f64 v[4:5], v[0:1], 0.5, -v[4:5]
	s_delay_alu instid0(VALU_DEP_4) | instskip(NEXT) | instid1(VALU_DEP_4)
	v_fma_f64 v[2:3], -v[19:20], v[6:7], v[17:18]
	v_fma_f64 v[6:7], -v[19:20], v[6:7], v[21:22]
	s_delay_alu instid0(VALU_DEP_4) | instskip(NEXT) | instid1(VALU_DEP_4)
	v_fma_f64 v[0:1], v[10:11], v[19:20], v[23:24]
	v_fma_f64 v[4:5], -v[10:11], v[19:20], v[4:5]
	v_lshlrev_b64_e32 v[10:11], 4, v[124:125]
	v_mov_b32_e32 v124, v115
	s_delay_alu instid0(VALU_DEP_2) | instskip(SKIP_1) | instid1(VALU_DEP_3)
	v_add_co_u32 v10, s0, s8, v10
	s_wait_alu 0xf1ff
	v_add_co_ci_u32_e64 v11, s0, s9, v11, s0
	global_load_b128 v[17:20], v[10:11], off offset:38720
	;; [unrolled: 34-line block ×5, first 2 shown]
	ds_store_b128 v164, v[0:3]
	ds_store_b128 v12, v[4:7] offset:31104
	ds_load_b128 v[0:3], v163
	ds_load_b128 v[4:7], v12 offset:29808
	s_wait_dscnt 0x0
	v_add_f64_e64 v[10:11], v[0:1], -v[4:5]
	v_add_f64_e32 v[21:22], v[2:3], v[6:7]
	v_add_f64_e64 v[2:3], v[2:3], -v[6:7]
	v_add_f64_e32 v[0:1], v[0:1], v[4:5]
	s_delay_alu instid0(VALU_DEP_4) | instskip(NEXT) | instid1(VALU_DEP_4)
	v_mul_f64_e32 v[6:7], 0.5, v[10:11]
	v_mul_f64_e32 v[10:11], 0.5, v[21:22]
	s_delay_alu instid0(VALU_DEP_4) | instskip(SKIP_1) | instid1(VALU_DEP_3)
	v_mul_f64_e32 v[2:3], 0.5, v[2:3]
	s_wait_loadcnt 0x1
	v_mul_f64_e32 v[4:5], v[6:7], v[19:20]
	s_delay_alu instid0(VALU_DEP_2) | instskip(SKIP_1) | instid1(VALU_DEP_3)
	v_fma_f64 v[21:22], v[10:11], v[19:20], v[2:3]
	v_fma_f64 v[19:20], v[10:11], v[19:20], -v[2:3]
	v_fma_f64 v[23:24], v[0:1], 0.5, v[4:5]
	v_fma_f64 v[4:5], v[0:1], 0.5, -v[4:5]
	s_delay_alu instid0(VALU_DEP_4) | instskip(NEXT) | instid1(VALU_DEP_4)
	v_fma_f64 v[2:3], -v[17:18], v[6:7], v[21:22]
	v_fma_f64 v[6:7], -v[17:18], v[6:7], v[19:20]
	s_delay_alu instid0(VALU_DEP_4) | instskip(NEXT) | instid1(VALU_DEP_4)
	v_fma_f64 v[0:1], v[10:11], v[17:18], v[23:24]
	v_fma_f64 v[4:5], -v[10:11], v[17:18], v[4:5]
	v_lshlrev_b64_e32 v[10:11], 4, v[120:121]
	s_delay_alu instid0(VALU_DEP_1) | instskip(SKIP_1) | instid1(VALU_DEP_2)
	v_add_co_u32 v10, s0, s8, v10
	s_wait_alu 0xf1ff
	v_add_co_ci_u32_e64 v11, s0, s9, v11, s0
	s_add_nc_u64 s[0:1], s[8:9], 0x9740
	global_load_b128 v[17:20], v[10:11], off offset:38720
	ds_store_b128 v163, v[0:3]
	ds_store_b128 v12, v[4:7] offset:29808
	ds_load_b128 v[0:3], v162
	ds_load_b128 v[4:7], v12 offset:28512
	s_wait_dscnt 0x0
	v_add_f64_e64 v[10:11], v[0:1], -v[4:5]
	v_add_f64_e32 v[21:22], v[2:3], v[6:7]
	v_add_f64_e64 v[2:3], v[2:3], -v[6:7]
	v_add_f64_e32 v[0:1], v[0:1], v[4:5]
	s_delay_alu instid0(VALU_DEP_4) | instskip(NEXT) | instid1(VALU_DEP_4)
	v_mul_f64_e32 v[6:7], 0.5, v[10:11]
	v_mul_f64_e32 v[10:11], 0.5, v[21:22]
	s_delay_alu instid0(VALU_DEP_4) | instskip(SKIP_1) | instid1(VALU_DEP_3)
	v_mul_f64_e32 v[2:3], 0.5, v[2:3]
	s_wait_loadcnt 0x1
	v_mul_f64_e32 v[4:5], v[6:7], v[15:16]
	s_delay_alu instid0(VALU_DEP_2) | instskip(SKIP_1) | instid1(VALU_DEP_3)
	v_fma_f64 v[21:22], v[10:11], v[15:16], v[2:3]
	v_fma_f64 v[15:16], v[10:11], v[15:16], -v[2:3]
	v_fma_f64 v[23:24], v[0:1], 0.5, v[4:5]
	v_fma_f64 v[4:5], v[0:1], 0.5, -v[4:5]
	s_delay_alu instid0(VALU_DEP_4) | instskip(NEXT) | instid1(VALU_DEP_4)
	v_fma_f64 v[2:3], -v[13:14], v[6:7], v[21:22]
	v_fma_f64 v[6:7], -v[13:14], v[6:7], v[15:16]
	s_wait_alu 0xfffe
	v_add_co_u32 v21, s0, s0, v8
	s_wait_alu 0xf1ff
	v_add_co_ci_u32_e64 v22, s0, s1, v9, s0
	v_fma_f64 v[0:1], v[10:11], v[13:14], v[23:24]
	v_fma_f64 v[4:5], -v[10:11], v[13:14], v[4:5]
	global_load_b128 v[8:11], v[21:22], off offset:12960
	ds_store_b128 v162, v[0:3]
	ds_store_b128 v12, v[4:7] offset:28512
	ds_load_b128 v[0:3], v161
	ds_load_b128 v[4:7], v12 offset:27216
	s_wait_dscnt 0x0
	v_add_f64_e64 v[13:14], v[0:1], -v[4:5]
	v_add_f64_e32 v[15:16], v[2:3], v[6:7]
	v_add_f64_e64 v[2:3], v[2:3], -v[6:7]
	v_add_f64_e32 v[0:1], v[0:1], v[4:5]
	s_delay_alu instid0(VALU_DEP_4) | instskip(NEXT) | instid1(VALU_DEP_4)
	v_mul_f64_e32 v[6:7], 0.5, v[13:14]
	v_mul_f64_e32 v[13:14], 0.5, v[15:16]
	s_delay_alu instid0(VALU_DEP_4) | instskip(SKIP_1) | instid1(VALU_DEP_3)
	v_mul_f64_e32 v[2:3], 0.5, v[2:3]
	s_wait_loadcnt 0x1
	v_mul_f64_e32 v[4:5], v[6:7], v[19:20]
	s_delay_alu instid0(VALU_DEP_2) | instskip(SKIP_1) | instid1(VALU_DEP_3)
	v_fma_f64 v[15:16], v[13:14], v[19:20], v[2:3]
	v_fma_f64 v[19:20], v[13:14], v[19:20], -v[2:3]
	v_fma_f64 v[23:24], v[0:1], 0.5, v[4:5]
	v_fma_f64 v[4:5], v[0:1], 0.5, -v[4:5]
	s_delay_alu instid0(VALU_DEP_4) | instskip(NEXT) | instid1(VALU_DEP_4)
	v_fma_f64 v[2:3], -v[17:18], v[6:7], v[15:16]
	v_fma_f64 v[6:7], -v[17:18], v[6:7], v[19:20]
	s_delay_alu instid0(VALU_DEP_4) | instskip(NEXT) | instid1(VALU_DEP_4)
	v_fma_f64 v[0:1], v[13:14], v[17:18], v[23:24]
	v_fma_f64 v[4:5], -v[13:14], v[17:18], v[4:5]
	global_load_b128 v[13:16], v[21:22], off offset:14256
	ds_store_b128 v161, v[0:3]
	ds_store_b128 v12, v[4:7] offset:27216
	ds_load_b128 v[0:3], v158 offset:12960
	ds_load_b128 v[4:7], v12 offset:25920
	s_wait_dscnt 0x0
	v_add_f64_e64 v[17:18], v[0:1], -v[4:5]
	v_add_f64_e32 v[19:20], v[2:3], v[6:7]
	v_add_f64_e64 v[2:3], v[2:3], -v[6:7]
	v_add_f64_e32 v[0:1], v[0:1], v[4:5]
	s_delay_alu instid0(VALU_DEP_4) | instskip(NEXT) | instid1(VALU_DEP_4)
	v_mul_f64_e32 v[6:7], 0.5, v[17:18]
	v_mul_f64_e32 v[17:18], 0.5, v[19:20]
	s_delay_alu instid0(VALU_DEP_4) | instskip(SKIP_1) | instid1(VALU_DEP_3)
	v_mul_f64_e32 v[2:3], 0.5, v[2:3]
	s_wait_loadcnt 0x1
	v_mul_f64_e32 v[4:5], v[6:7], v[10:11]
	s_delay_alu instid0(VALU_DEP_2) | instskip(SKIP_1) | instid1(VALU_DEP_3)
	v_fma_f64 v[19:20], v[17:18], v[10:11], v[2:3]
	v_fma_f64 v[10:11], v[17:18], v[10:11], -v[2:3]
	v_fma_f64 v[23:24], v[0:1], 0.5, v[4:5]
	v_fma_f64 v[4:5], v[0:1], 0.5, -v[4:5]
	s_delay_alu instid0(VALU_DEP_4) | instskip(NEXT) | instid1(VALU_DEP_4)
	v_fma_f64 v[2:3], -v[8:9], v[6:7], v[19:20]
	v_fma_f64 v[6:7], -v[8:9], v[6:7], v[10:11]
	s_delay_alu instid0(VALU_DEP_4) | instskip(NEXT) | instid1(VALU_DEP_4)
	v_fma_f64 v[0:1], v[17:18], v[8:9], v[23:24]
	v_fma_f64 v[4:5], -v[17:18], v[8:9], v[4:5]
	global_load_b128 v[8:11], v[21:22], off offset:15552
	ds_store_b128 v158, v[0:3] offset:12960
	ds_store_b128 v12, v[4:7] offset:25920
	ds_load_b128 v[0:3], v158 offset:14256
	ds_load_b128 v[4:7], v12 offset:24624
	s_wait_dscnt 0x0
	v_add_f64_e64 v[17:18], v[0:1], -v[4:5]
	v_add_f64_e32 v[19:20], v[2:3], v[6:7]
	v_add_f64_e64 v[2:3], v[2:3], -v[6:7]
	v_add_f64_e32 v[0:1], v[0:1], v[4:5]
	s_delay_alu instid0(VALU_DEP_4) | instskip(NEXT) | instid1(VALU_DEP_4)
	v_mul_f64_e32 v[6:7], 0.5, v[17:18]
	v_mul_f64_e32 v[17:18], 0.5, v[19:20]
	s_delay_alu instid0(VALU_DEP_4) | instskip(SKIP_1) | instid1(VALU_DEP_3)
	v_mul_f64_e32 v[2:3], 0.5, v[2:3]
	s_wait_loadcnt 0x1
	v_mul_f64_e32 v[4:5], v[6:7], v[15:16]
	s_delay_alu instid0(VALU_DEP_2) | instskip(SKIP_1) | instid1(VALU_DEP_3)
	v_fma_f64 v[19:20], v[17:18], v[15:16], v[2:3]
	v_fma_f64 v[15:16], v[17:18], v[15:16], -v[2:3]
	v_fma_f64 v[23:24], v[0:1], 0.5, v[4:5]
	v_fma_f64 v[4:5], v[0:1], 0.5, -v[4:5]
	s_delay_alu instid0(VALU_DEP_4) | instskip(NEXT) | instid1(VALU_DEP_4)
	v_fma_f64 v[2:3], -v[13:14], v[6:7], v[19:20]
	v_fma_f64 v[6:7], -v[13:14], v[6:7], v[15:16]
	s_delay_alu instid0(VALU_DEP_4) | instskip(NEXT) | instid1(VALU_DEP_4)
	v_fma_f64 v[0:1], v[17:18], v[13:14], v[23:24]
	v_fma_f64 v[4:5], -v[17:18], v[13:14], v[4:5]
	global_load_b128 v[13:16], v[21:22], off offset:16848
	ds_store_b128 v158, v[0:3] offset:14256
	;; [unrolled: 28-line block ×3, first 2 shown]
	ds_store_b128 v12, v[4:7] offset:23328
	ds_load_b128 v[0:3], v158 offset:16848
	ds_load_b128 v[4:7], v12 offset:22032
	s_wait_dscnt 0x0
	v_add_f64_e64 v[17:18], v[0:1], -v[4:5]
	v_add_f64_e32 v[19:20], v[2:3], v[6:7]
	v_add_f64_e64 v[2:3], v[2:3], -v[6:7]
	v_add_f64_e32 v[0:1], v[0:1], v[4:5]
	s_delay_alu instid0(VALU_DEP_4) | instskip(NEXT) | instid1(VALU_DEP_4)
	v_mul_f64_e32 v[6:7], 0.5, v[17:18]
	v_mul_f64_e32 v[17:18], 0.5, v[19:20]
	s_delay_alu instid0(VALU_DEP_4) | instskip(SKIP_1) | instid1(VALU_DEP_3)
	v_mul_f64_e32 v[2:3], 0.5, v[2:3]
	s_wait_loadcnt 0x1
	v_mul_f64_e32 v[4:5], v[6:7], v[15:16]
	s_delay_alu instid0(VALU_DEP_2) | instskip(SKIP_1) | instid1(VALU_DEP_3)
	v_fma_f64 v[19:20], v[17:18], v[15:16], v[2:3]
	v_fma_f64 v[15:16], v[17:18], v[15:16], -v[2:3]
	v_fma_f64 v[21:22], v[0:1], 0.5, v[4:5]
	v_fma_f64 v[4:5], v[0:1], 0.5, -v[4:5]
	s_delay_alu instid0(VALU_DEP_4) | instskip(NEXT) | instid1(VALU_DEP_4)
	v_fma_f64 v[2:3], -v[13:14], v[6:7], v[19:20]
	v_fma_f64 v[6:7], -v[13:14], v[6:7], v[15:16]
	s_delay_alu instid0(VALU_DEP_4) | instskip(NEXT) | instid1(VALU_DEP_4)
	v_fma_f64 v[0:1], v[17:18], v[13:14], v[21:22]
	v_fma_f64 v[4:5], -v[17:18], v[13:14], v[4:5]
	ds_store_b128 v158, v[0:3] offset:16848
	ds_store_b128 v12, v[4:7] offset:22032
	ds_load_b128 v[0:3], v158 offset:18144
	ds_load_b128 v[4:7], v12 offset:20736
	s_wait_dscnt 0x0
	v_add_f64_e64 v[13:14], v[0:1], -v[4:5]
	v_add_f64_e32 v[15:16], v[2:3], v[6:7]
	v_add_f64_e64 v[2:3], v[2:3], -v[6:7]
	v_add_f64_e32 v[0:1], v[0:1], v[4:5]
	s_delay_alu instid0(VALU_DEP_4) | instskip(NEXT) | instid1(VALU_DEP_4)
	v_mul_f64_e32 v[6:7], 0.5, v[13:14]
	v_mul_f64_e32 v[13:14], 0.5, v[15:16]
	s_delay_alu instid0(VALU_DEP_4) | instskip(SKIP_1) | instid1(VALU_DEP_3)
	v_mul_f64_e32 v[2:3], 0.5, v[2:3]
	s_wait_loadcnt 0x0
	v_mul_f64_e32 v[4:5], v[6:7], v[10:11]
	s_delay_alu instid0(VALU_DEP_2) | instskip(SKIP_1) | instid1(VALU_DEP_3)
	v_fma_f64 v[15:16], v[13:14], v[10:11], v[2:3]
	v_fma_f64 v[10:11], v[13:14], v[10:11], -v[2:3]
	v_fma_f64 v[17:18], v[0:1], 0.5, v[4:5]
	v_fma_f64 v[4:5], v[0:1], 0.5, -v[4:5]
	s_delay_alu instid0(VALU_DEP_4) | instskip(NEXT) | instid1(VALU_DEP_4)
	v_fma_f64 v[2:3], -v[8:9], v[6:7], v[15:16]
	v_fma_f64 v[6:7], -v[8:9], v[6:7], v[10:11]
	s_delay_alu instid0(VALU_DEP_4) | instskip(NEXT) | instid1(VALU_DEP_4)
	v_fma_f64 v[0:1], v[13:14], v[8:9], v[17:18]
	v_fma_f64 v[4:5], -v[13:14], v[8:9], v[4:5]
	ds_store_b128 v158, v[0:3] offset:18144
	ds_store_b128 v12, v[4:7] offset:20736
	global_wb scope:SCOPE_SE
	s_wait_dscnt 0x0
	s_barrier_signal -1
	s_barrier_wait -1
	global_inv scope:SCOPE_SE
	s_and_saveexec_b32 s0, vcc_lo
	s_cbranch_execz .LBB0_20
; %bb.18:
	v_mul_lo_u32 v2, s3, v118
	v_mul_lo_u32 v3, s2, v119
	v_mad_co_u64_u32 v[0:1], null, s2, v118, 0
	v_lshl_add_u32 v28, v112, 4, 0
	v_dual_mov_b32 v113, v115 :: v_dual_add_nc_u32 v114, 0x51, v112
	v_lshlrev_b64_e32 v[10:11], 4, v[116:117]
	s_delay_alu instid0(VALU_DEP_4)
	v_add3_u32 v1, v1, v3, v2
	ds_load_b128 v[2:5], v28
	ds_load_b128 v[6:9], v28 offset:1296
	v_lshlrev_b64_e32 v[12:13], 4, v[112:113]
	v_lshlrev_b64_e32 v[14:15], 4, v[114:115]
	v_add_nc_u32_e32 v114, 0xa2, v112
	v_lshlrev_b64_e32 v[0:1], 4, v[0:1]
	s_delay_alu instid0(VALU_DEP_1) | instskip(SKIP_1) | instid1(VALU_DEP_2)
	v_add_co_u32 v0, vcc_lo, s6, v0
	s_wait_alu 0xfffd
	v_add_co_ci_u32_e32 v1, vcc_lo, s7, v1, vcc_lo
	s_delay_alu instid0(VALU_DEP_2) | instskip(SKIP_1) | instid1(VALU_DEP_2)
	v_add_co_u32 v0, vcc_lo, v0, v10
	s_wait_alu 0xfffd
	v_add_co_ci_u32_e32 v1, vcc_lo, v1, v11, vcc_lo
	s_delay_alu instid0(VALU_DEP_2) | instskip(SKIP_1) | instid1(VALU_DEP_2)
	v_add_co_u32 v10, vcc_lo, v0, v12
	s_wait_alu 0xfffd
	v_add_co_ci_u32_e32 v11, vcc_lo, v1, v13, vcc_lo
	v_add_co_u32 v12, vcc_lo, v0, v14
	s_wait_alu 0xfffd
	v_add_co_ci_u32_e32 v13, vcc_lo, v1, v15, vcc_lo
	v_lshlrev_b64_e32 v[14:15], 4, v[114:115]
	v_add_nc_u32_e32 v114, 0xf3, v112
	s_wait_dscnt 0x1
	global_store_b128 v[10:11], v[2:5], off
	s_wait_dscnt 0x0
	global_store_b128 v[12:13], v[6:9], off
	ds_load_b128 v[2:5], v28 offset:2592
	ds_load_b128 v[6:9], v28 offset:3888
	v_add_co_u32 v20, vcc_lo, v0, v14
	v_lshlrev_b64_e32 v[18:19], 4, v[114:115]
	v_add_nc_u32_e32 v114, 0x144, v112
	s_wait_alu 0xfffd
	v_add_co_ci_u32_e32 v21, vcc_lo, v1, v15, vcc_lo
	ds_load_b128 v[10:13], v28 offset:5184
	ds_load_b128 v[14:17], v28 offset:6480
	v_lshlrev_b64_e32 v[22:23], 4, v[114:115]
	v_add_nc_u32_e32 v114, 0x195, v112
	v_add_co_u32 v18, vcc_lo, v0, v18
	s_wait_alu 0xfffd
	v_add_co_ci_u32_e32 v19, vcc_lo, v1, v19, vcc_lo
	s_delay_alu instid0(VALU_DEP_3) | instskip(SKIP_4) | instid1(VALU_DEP_4)
	v_lshlrev_b64_e32 v[24:25], 4, v[114:115]
	v_add_nc_u32_e32 v114, 0x1e6, v112
	v_add_co_u32 v22, vcc_lo, v0, v22
	s_wait_alu 0xfffd
	v_add_co_ci_u32_e32 v23, vcc_lo, v1, v23, vcc_lo
	v_add_co_u32 v24, vcc_lo, v0, v24
	v_lshlrev_b64_e32 v[26:27], 4, v[114:115]
	v_add_nc_u32_e32 v114, 0x237, v112
	s_wait_alu 0xfffd
	v_add_co_ci_u32_e32 v25, vcc_lo, v1, v25, vcc_lo
	s_wait_dscnt 0x3
	global_store_b128 v[20:21], v[2:5], off
	s_wait_dscnt 0x2
	global_store_b128 v[18:19], v[6:9], off
	s_wait_dscnt 0x1
	global_store_b128 v[22:23], v[10:13], off
	s_wait_dscnt 0x0
	global_store_b128 v[24:25], v[14:17], off
	ds_load_b128 v[2:5], v28 offset:7776
	ds_load_b128 v[6:9], v28 offset:9072
	v_lshlrev_b64_e32 v[18:19], 4, v[114:115]
	v_add_nc_u32_e32 v114, 0x288, v112
	ds_load_b128 v[10:13], v28 offset:10368
	ds_load_b128 v[14:17], v28 offset:11664
	v_add_co_u32 v20, vcc_lo, v0, v26
	s_wait_alu 0xfffd
	v_add_co_ci_u32_e32 v21, vcc_lo, v1, v27, vcc_lo
	v_lshlrev_b64_e32 v[22:23], 4, v[114:115]
	v_add_nc_u32_e32 v114, 0x2d9, v112
	v_add_co_u32 v18, vcc_lo, v0, v18
	s_wait_alu 0xfffd
	v_add_co_ci_u32_e32 v19, vcc_lo, v1, v19, vcc_lo
	s_delay_alu instid0(VALU_DEP_3) | instskip(SKIP_4) | instid1(VALU_DEP_4)
	v_lshlrev_b64_e32 v[24:25], 4, v[114:115]
	v_add_nc_u32_e32 v114, 0x32a, v112
	v_add_co_u32 v22, vcc_lo, v0, v22
	s_wait_alu 0xfffd
	v_add_co_ci_u32_e32 v23, vcc_lo, v1, v23, vcc_lo
	v_add_co_u32 v24, vcc_lo, v0, v24
	v_lshlrev_b64_e32 v[26:27], 4, v[114:115]
	v_add_nc_u32_e32 v114, 0x37b, v112
	s_wait_alu 0xfffd
	v_add_co_ci_u32_e32 v25, vcc_lo, v1, v25, vcc_lo
	s_wait_dscnt 0x3
	global_store_b128 v[20:21], v[2:5], off
	s_wait_dscnt 0x2
	global_store_b128 v[18:19], v[6:9], off
	s_wait_dscnt 0x1
	global_store_b128 v[22:23], v[10:13], off
	s_wait_dscnt 0x0
	global_store_b128 v[24:25], v[14:17], off
	ds_load_b128 v[2:5], v28 offset:12960
	ds_load_b128 v[6:9], v28 offset:14256
	v_lshlrev_b64_e32 v[18:19], 4, v[114:115]
	v_add_nc_u32_e32 v114, 0x3cc, v112
	ds_load_b128 v[10:13], v28 offset:15552
	ds_load_b128 v[14:17], v28 offset:16848
	v_add_co_u32 v20, vcc_lo, v0, v26
	s_wait_alu 0xfffd
	v_add_co_ci_u32_e32 v21, vcc_lo, v1, v27, vcc_lo
	v_lshlrev_b64_e32 v[22:23], 4, v[114:115]
	v_add_nc_u32_e32 v114, 0x41d, v112
	v_add_co_u32 v18, vcc_lo, v0, v18
	s_wait_alu 0xfffd
	v_add_co_ci_u32_e32 v19, vcc_lo, v1, v19, vcc_lo
	s_delay_alu instid0(VALU_DEP_3) | instskip(SKIP_4) | instid1(VALU_DEP_4)
	v_lshlrev_b64_e32 v[24:25], 4, v[114:115]
	v_add_nc_u32_e32 v114, 0x46e, v112
	v_add_co_u32 v22, vcc_lo, v0, v22
	s_wait_alu 0xfffd
	v_add_co_ci_u32_e32 v23, vcc_lo, v1, v23, vcc_lo
	v_add_co_u32 v24, vcc_lo, v0, v24
	v_lshlrev_b64_e32 v[26:27], 4, v[114:115]
	v_add_nc_u32_e32 v114, 0x4bf, v112
	s_wait_alu 0xfffd
	v_add_co_ci_u32_e32 v25, vcc_lo, v1, v25, vcc_lo
	s_wait_dscnt 0x3
	global_store_b128 v[20:21], v[2:5], off
	s_wait_dscnt 0x2
	global_store_b128 v[18:19], v[6:9], off
	s_wait_dscnt 0x1
	global_store_b128 v[22:23], v[10:13], off
	s_wait_dscnt 0x0
	global_store_b128 v[24:25], v[14:17], off
	ds_load_b128 v[2:5], v28 offset:18144
	ds_load_b128 v[6:9], v28 offset:19440
	v_lshlrev_b64_e32 v[18:19], 4, v[114:115]
	v_add_nc_u32_e32 v114, 0x510, v112
	ds_load_b128 v[10:13], v28 offset:20736
	ds_load_b128 v[14:17], v28 offset:22032
	v_add_co_u32 v20, vcc_lo, v0, v26
	s_wait_alu 0xfffd
	v_add_co_ci_u32_e32 v21, vcc_lo, v1, v27, vcc_lo
	v_lshlrev_b64_e32 v[22:23], 4, v[114:115]
	v_add_nc_u32_e32 v114, 0x561, v112
	v_add_co_u32 v18, vcc_lo, v0, v18
	s_wait_alu 0xfffd
	v_add_co_ci_u32_e32 v19, vcc_lo, v1, v19, vcc_lo
	s_delay_alu instid0(VALU_DEP_3) | instskip(SKIP_4) | instid1(VALU_DEP_4)
	v_lshlrev_b64_e32 v[24:25], 4, v[114:115]
	v_add_nc_u32_e32 v114, 0x5b2, v112
	v_add_co_u32 v22, vcc_lo, v0, v22
	s_wait_alu 0xfffd
	v_add_co_ci_u32_e32 v23, vcc_lo, v1, v23, vcc_lo
	v_add_co_u32 v24, vcc_lo, v0, v24
	v_lshlrev_b64_e32 v[26:27], 4, v[114:115]
	v_add_nc_u32_e32 v114, 0x603, v112
	s_wait_alu 0xfffd
	v_add_co_ci_u32_e32 v25, vcc_lo, v1, v25, vcc_lo
	s_wait_dscnt 0x3
	global_store_b128 v[20:21], v[2:5], off
	s_wait_dscnt 0x2
	global_store_b128 v[18:19], v[6:9], off
	s_wait_dscnt 0x1
	global_store_b128 v[22:23], v[10:13], off
	s_wait_dscnt 0x0
	global_store_b128 v[24:25], v[14:17], off
	ds_load_b128 v[2:5], v28 offset:23328
	ds_load_b128 v[6:9], v28 offset:24624
	v_lshlrev_b64_e32 v[18:19], 4, v[114:115]
	v_add_nc_u32_e32 v114, 0x654, v112
	ds_load_b128 v[10:13], v28 offset:25920
	ds_load_b128 v[14:17], v28 offset:27216
	v_add_co_u32 v20, vcc_lo, v0, v26
	s_wait_alu 0xfffd
	v_add_co_ci_u32_e32 v21, vcc_lo, v1, v27, vcc_lo
	v_lshlrev_b64_e32 v[22:23], 4, v[114:115]
	v_add_nc_u32_e32 v114, 0x6a5, v112
	v_add_co_u32 v18, vcc_lo, v0, v18
	s_wait_alu 0xfffd
	v_add_co_ci_u32_e32 v19, vcc_lo, v1, v19, vcc_lo
	s_delay_alu instid0(VALU_DEP_3) | instskip(SKIP_4) | instid1(VALU_DEP_4)
	v_lshlrev_b64_e32 v[24:25], 4, v[114:115]
	v_add_nc_u32_e32 v114, 0x6f6, v112
	v_add_co_u32 v22, vcc_lo, v0, v22
	s_wait_alu 0xfffd
	v_add_co_ci_u32_e32 v23, vcc_lo, v1, v23, vcc_lo
	v_add_co_u32 v24, vcc_lo, v0, v24
	v_lshlrev_b64_e32 v[26:27], 4, v[114:115]
	v_add_nc_u32_e32 v114, 0x747, v112
	s_wait_alu 0xfffd
	v_add_co_ci_u32_e32 v25, vcc_lo, v1, v25, vcc_lo
	s_wait_dscnt 0x3
	global_store_b128 v[20:21], v[2:5], off
	s_wait_dscnt 0x2
	global_store_b128 v[18:19], v[6:9], off
	s_wait_dscnt 0x1
	global_store_b128 v[22:23], v[10:13], off
	s_wait_dscnt 0x0
	global_store_b128 v[24:25], v[14:17], off
	ds_load_b128 v[2:5], v28 offset:28512
	ds_load_b128 v[6:9], v28 offset:29808
	v_lshlrev_b64_e32 v[18:19], 4, v[114:115]
	v_add_nc_u32_e32 v114, 0x798, v112
	ds_load_b128 v[10:13], v28 offset:31104
	ds_load_b128 v[14:17], v28 offset:32400
	v_add_co_u32 v20, vcc_lo, v0, v26
	s_wait_alu 0xfffd
	v_add_co_ci_u32_e32 v21, vcc_lo, v1, v27, vcc_lo
	v_lshlrev_b64_e32 v[22:23], 4, v[114:115]
	v_add_nc_u32_e32 v114, 0x7e9, v112
	v_add_co_u32 v18, vcc_lo, v0, v18
	s_wait_alu 0xfffd
	v_add_co_ci_u32_e32 v19, vcc_lo, v1, v19, vcc_lo
	s_delay_alu instid0(VALU_DEP_3) | instskip(SKIP_4) | instid1(VALU_DEP_3)
	v_lshlrev_b64_e32 v[24:25], 4, v[114:115]
	v_add_nc_u32_e32 v114, 0x83a, v112
	v_add_co_u32 v22, vcc_lo, v0, v22
	s_wait_alu 0xfffd
	v_add_co_ci_u32_e32 v23, vcc_lo, v1, v23, vcc_lo
	v_lshlrev_b64_e32 v[26:27], 4, v[114:115]
	v_add_nc_u32_e32 v114, 0x88b, v112
	v_add_co_u32 v24, vcc_lo, v0, v24
	s_wait_alu 0xfffd
	v_add_co_ci_u32_e32 v25, vcc_lo, v1, v25, vcc_lo
	s_wait_dscnt 0x3
	global_store_b128 v[20:21], v[2:5], off
	s_wait_dscnt 0x2
	global_store_b128 v[18:19], v[6:9], off
	;; [unrolled: 2-line block ×4, first 2 shown]
	v_lshlrev_b64_e32 v[20:21], 4, v[114:115]
	v_add_nc_u32_e32 v114, 0x8dc, v112
	ds_load_b128 v[2:5], v28 offset:33696
	ds_load_b128 v[6:9], v28 offset:34992
	ds_load_b128 v[10:13], v28 offset:36288
	ds_load_b128 v[14:17], v28 offset:37584
	v_add_co_u32 v18, vcc_lo, v0, v26
	s_wait_alu 0xfffd
	v_add_co_ci_u32_e32 v19, vcc_lo, v1, v27, vcc_lo
	v_lshlrev_b64_e32 v[22:23], 4, v[114:115]
	v_add_nc_u32_e32 v114, 0x92d, v112
	v_add_co_u32 v20, vcc_lo, v0, v20
	s_wait_alu 0xfffd
	v_add_co_ci_u32_e32 v21, vcc_lo, v1, v21, vcc_lo
	s_delay_alu instid0(VALU_DEP_3) | instskip(SKIP_3) | instid1(VALU_DEP_3)
	v_lshlrev_b64_e32 v[24:25], 4, v[114:115]
	v_add_co_u32 v22, vcc_lo, v0, v22
	s_wait_alu 0xfffd
	v_add_co_ci_u32_e32 v23, vcc_lo, v1, v23, vcc_lo
	v_add_co_u32 v24, vcc_lo, v0, v24
	s_wait_alu 0xfffd
	v_add_co_ci_u32_e32 v25, vcc_lo, v1, v25, vcc_lo
	v_cmp_eq_u32_e32 vcc_lo, 0x50, v112
	s_wait_dscnt 0x3
	global_store_b128 v[18:19], v[2:5], off
	s_wait_dscnt 0x2
	global_store_b128 v[20:21], v[6:9], off
	;; [unrolled: 2-line block ×4, first 2 shown]
	s_and_b32 exec_lo, exec_lo, vcc_lo
	s_cbranch_execz .LBB0_20
; %bb.19:
	v_mov_b32_e32 v2, 0
	ds_load_b128 v[2:5], v2 offset:38880
	s_wait_dscnt 0x0
	global_store_b128 v[0:1], v[2:5], off offset:38880
.LBB0_20:
	s_nop 0
	s_sendmsg sendmsg(MSG_DEALLOC_VGPRS)
	s_endpgm
	.section	.rodata,"a",@progbits
	.p2align	6, 0x0
	.amdhsa_kernel fft_rtc_back_len2430_factors_10_3_3_3_3_3_wgs_81_tpt_81_halfLds_dp_op_CI_CI_unitstride_sbrr_R2C_dirReg
		.amdhsa_group_segment_fixed_size 0
		.amdhsa_private_segment_fixed_size 0
		.amdhsa_kernarg_size 104
		.amdhsa_user_sgpr_count 2
		.amdhsa_user_sgpr_dispatch_ptr 0
		.amdhsa_user_sgpr_queue_ptr 0
		.amdhsa_user_sgpr_kernarg_segment_ptr 1
		.amdhsa_user_sgpr_dispatch_id 0
		.amdhsa_user_sgpr_private_segment_size 0
		.amdhsa_wavefront_size32 1
		.amdhsa_uses_dynamic_stack 0
		.amdhsa_enable_private_segment 0
		.amdhsa_system_sgpr_workgroup_id_x 1
		.amdhsa_system_sgpr_workgroup_id_y 0
		.amdhsa_system_sgpr_workgroup_id_z 0
		.amdhsa_system_sgpr_workgroup_info 0
		.amdhsa_system_vgpr_workitem_id 0
		.amdhsa_next_free_vgpr 239
		.amdhsa_next_free_sgpr 39
		.amdhsa_reserve_vcc 1
		.amdhsa_float_round_mode_32 0
		.amdhsa_float_round_mode_16_64 0
		.amdhsa_float_denorm_mode_32 3
		.amdhsa_float_denorm_mode_16_64 3
		.amdhsa_fp16_overflow 0
		.amdhsa_workgroup_processor_mode 1
		.amdhsa_memory_ordered 1
		.amdhsa_forward_progress 0
		.amdhsa_round_robin_scheduling 0
		.amdhsa_exception_fp_ieee_invalid_op 0
		.amdhsa_exception_fp_denorm_src 0
		.amdhsa_exception_fp_ieee_div_zero 0
		.amdhsa_exception_fp_ieee_overflow 0
		.amdhsa_exception_fp_ieee_underflow 0
		.amdhsa_exception_fp_ieee_inexact 0
		.amdhsa_exception_int_div_zero 0
	.end_amdhsa_kernel
	.text
.Lfunc_end0:
	.size	fft_rtc_back_len2430_factors_10_3_3_3_3_3_wgs_81_tpt_81_halfLds_dp_op_CI_CI_unitstride_sbrr_R2C_dirReg, .Lfunc_end0-fft_rtc_back_len2430_factors_10_3_3_3_3_3_wgs_81_tpt_81_halfLds_dp_op_CI_CI_unitstride_sbrr_R2C_dirReg
                                        ; -- End function
	.section	.AMDGPU.csdata,"",@progbits
; Kernel info:
; codeLenInByte = 25180
; NumSgprs: 41
; NumVgprs: 239
; ScratchSize: 0
; MemoryBound: 0
; FloatMode: 240
; IeeeMode: 1
; LDSByteSize: 0 bytes/workgroup (compile time only)
; SGPRBlocks: 5
; VGPRBlocks: 29
; NumSGPRsForWavesPerEU: 41
; NumVGPRsForWavesPerEU: 239
; Occupancy: 6
; WaveLimiterHint : 1
; COMPUTE_PGM_RSRC2:SCRATCH_EN: 0
; COMPUTE_PGM_RSRC2:USER_SGPR: 2
; COMPUTE_PGM_RSRC2:TRAP_HANDLER: 0
; COMPUTE_PGM_RSRC2:TGID_X_EN: 1
; COMPUTE_PGM_RSRC2:TGID_Y_EN: 0
; COMPUTE_PGM_RSRC2:TGID_Z_EN: 0
; COMPUTE_PGM_RSRC2:TIDIG_COMP_CNT: 0
	.text
	.p2alignl 7, 3214868480
	.fill 96, 4, 3214868480
	.type	__hip_cuid_24aaba48f8e24a49,@object ; @__hip_cuid_24aaba48f8e24a49
	.section	.bss,"aw",@nobits
	.globl	__hip_cuid_24aaba48f8e24a49
__hip_cuid_24aaba48f8e24a49:
	.byte	0                               ; 0x0
	.size	__hip_cuid_24aaba48f8e24a49, 1

	.ident	"AMD clang version 19.0.0git (https://github.com/RadeonOpenCompute/llvm-project roc-6.4.0 25133 c7fe45cf4b819c5991fe208aaa96edf142730f1d)"
	.section	".note.GNU-stack","",@progbits
	.addrsig
	.addrsig_sym __hip_cuid_24aaba48f8e24a49
	.amdgpu_metadata
---
amdhsa.kernels:
  - .args:
      - .actual_access:  read_only
        .address_space:  global
        .offset:         0
        .size:           8
        .value_kind:     global_buffer
      - .offset:         8
        .size:           8
        .value_kind:     by_value
      - .actual_access:  read_only
        .address_space:  global
        .offset:         16
        .size:           8
        .value_kind:     global_buffer
      - .actual_access:  read_only
        .address_space:  global
        .offset:         24
        .size:           8
        .value_kind:     global_buffer
      - .actual_access:  read_only
        .address_space:  global
        .offset:         32
        .size:           8
        .value_kind:     global_buffer
      - .offset:         40
        .size:           8
        .value_kind:     by_value
      - .actual_access:  read_only
        .address_space:  global
        .offset:         48
        .size:           8
        .value_kind:     global_buffer
      - .actual_access:  read_only
        .address_space:  global
        .offset:         56
        .size:           8
        .value_kind:     global_buffer
      - .offset:         64
        .size:           4
        .value_kind:     by_value
      - .actual_access:  read_only
        .address_space:  global
        .offset:         72
        .size:           8
        .value_kind:     global_buffer
      - .actual_access:  read_only
        .address_space:  global
        .offset:         80
        .size:           8
        .value_kind:     global_buffer
      - .actual_access:  read_only
        .address_space:  global
        .offset:         88
        .size:           8
        .value_kind:     global_buffer
      - .actual_access:  write_only
        .address_space:  global
        .offset:         96
        .size:           8
        .value_kind:     global_buffer
    .group_segment_fixed_size: 0
    .kernarg_segment_align: 8
    .kernarg_segment_size: 104
    .language:       OpenCL C
    .language_version:
      - 2
      - 0
    .max_flat_workgroup_size: 81
    .name:           fft_rtc_back_len2430_factors_10_3_3_3_3_3_wgs_81_tpt_81_halfLds_dp_op_CI_CI_unitstride_sbrr_R2C_dirReg
    .private_segment_fixed_size: 0
    .sgpr_count:     41
    .sgpr_spill_count: 0
    .symbol:         fft_rtc_back_len2430_factors_10_3_3_3_3_3_wgs_81_tpt_81_halfLds_dp_op_CI_CI_unitstride_sbrr_R2C_dirReg.kd
    .uniform_work_group_size: 1
    .uses_dynamic_stack: false
    .vgpr_count:     239
    .vgpr_spill_count: 0
    .wavefront_size: 32
    .workgroup_processor_mode: 1
amdhsa.target:   amdgcn-amd-amdhsa--gfx1201
amdhsa.version:
  - 1
  - 2
...

	.end_amdgpu_metadata
